;; amdgpu-corpus repo=zjin-lcf/HeCBench kind=compiled arch=gfx1030 opt=O3
	.amdgcn_target "amdgcn-amd-amdhsa--gfx1030"
	.amdhsa_code_object_version 6
	.text
	.p2align	2                               ; -- Begin function _Z12cuda_rys_pbfPKdS0_S0_S0_
	.type	_Z12cuda_rys_pbfPKdS0_S0_S0_,@function
_Z12cuda_rys_pbfPKdS0_S0_S0_:           ; @_Z12cuda_rys_pbfPKdS0_S0_S0_
; %bb.0:
	s_waitcnt vmcnt(0) expcnt(0) lgkmcnt(0)
	s_clause 0x1
	flat_load_dwordx4 v[24:27], v[0:1]
	flat_load_dwordx4 v[28:31], v[0:1] offset:16
	s_clause 0x1
	flat_load_dwordx4 v[33:36], v[2:3]
	flat_load_dwordx4 v[8:11], v[2:3] offset:48
	flat_load_dwordx4 v[12:15], v[0:1] offset:48
	;; [unrolled: 1-line block ×3, first 2 shown]
	s_clause 0x1
	flat_load_dwordx4 v[64:67], v[6:7]
	flat_load_dwordx4 v[16:19], v[6:7] offset:48
	flat_load_dwordx4 v[20:23], v[4:5] offset:48
	;; [unrolled: 1-line block ×5, first 2 shown]
	s_clause 0x2
	flat_load_dwordx4 v[96:99], v[4:5]
	flat_load_dwordx4 v[100:103], v[4:5] offset:16
	flat_load_dwordx4 v[112:115], v[4:5] offset:32
	;; [unrolled: 1-line block ×3, first 2 shown]
	s_waitcnt vmcnt(15) lgkmcnt(15)
	v_cvt_f32_f64_e32 v32, v[24:25]
	s_waitcnt vmcnt(14) lgkmcnt(14)
	v_cvt_i32_f64_e32 v25, v[30:31]
	s_waitcnt vmcnt(13) lgkmcnt(13)
	v_cvt_f32_f64_e32 v34, v[33:34]
	s_waitcnt vmcnt(12) lgkmcnt(12)
	v_cvt_f32_f64_e32 v37, v[8:9]
	v_cvt_f32_f64_e32 v31, v[35:36]
	;; [unrolled: 1-line block ×3, first 2 shown]
	s_waitcnt vmcnt(11) lgkmcnt(11)
	v_cvt_f32_f64_e32 v38, v[12:13]
	s_waitcnt vmcnt(10) lgkmcnt(10)
	v_cvt_f32_f64_e32 v29, v[51:52]
	v_cvt_f32_f64_e32 v24, v[26:27]
	s_waitcnt vmcnt(9) lgkmcnt(9)
	v_cvt_f32_f64_e32 v49, v[64:65]
	s_waitcnt vmcnt(8) lgkmcnt(8)
	;; [unrolled: 2-line block ×3, first 2 shown]
	v_cvt_f32_f64_e32 v30, v[68:69]
	v_cvt_f32_f64_e32 v52, v[20:21]
	s_waitcnt vmcnt(3) lgkmcnt(3)
	v_cvt_f32_f64_e32 v39, v[96:97]
	s_waitcnt vmcnt(2) lgkmcnt(2)
	v_cvt_f32_f64_e32 v16, v[100:101]
	v_cvt_f32_f64_e32 v33, v[66:67]
	;; [unrolled: 1-line block ×3, first 2 shown]
	v_cvt_i32_f64_e32 v1, v[53:54]
	v_cvt_i32_f64_e32 v4, v[70:71]
	;; [unrolled: 1-line block ×7, first 2 shown]
	s_waitcnt vmcnt(1) lgkmcnt(1)
	v_cvt_i32_f64_e32 v21, v[112:113]
	v_mul_f32_e32 v8, v34, v37
	v_mul_f32_e32 v9, v31, v37
	v_cvt_i32_f64_e32 v13, v[114:115]
	v_add_f32_e32 v20, v38, v37
	v_mul_f32_e32 v35, v29, v37
	v_fmac_f32_e32 v8, v32, v38
	v_fmac_f32_e32 v9, v24, v38
	v_mul_f32_e32 v36, v49, v51
	v_mul_f32_e32 v65, v30, v51
	v_fmac_f32_e32 v35, v0, v38
	v_div_scale_f32 v54, null, v20, v20, v8
	v_add_f32_e32 v27, v52, v51
	v_fmac_f32_e32 v36, v39, v52
	v_div_scale_f32 v55, null, v20, v20, v9
	v_fmac_f32_e32 v65, v16, v52
	v_div_scale_f32 v66, null, v20, v20, v35
	v_rcp_f32_e32 v64, v54
	v_mul_f32_e32 v50, v33, v51
	v_mul_f32_e32 v53, v20, v27
	v_add_f32_e32 v7, v20, v27
	v_div_scale_f32 v67, null, v27, v27, v36
	v_rcp_f32_e32 v71, v55
	v_div_scale_f32 v69, null, v27, v27, v65
	v_rcp_f32_e32 v80, v66
	v_fmac_f32_e32 v50, v26, v52
	v_div_scale_f32 v70, null, v7, v7, v53
	v_rcp_f32_e32 v81, v67
	v_rcp_f32_e32 v84, v69
	v_fma_f32 v87, -v54, v64, 1.0
	v_div_scale_f32 v68, null, v27, v27, v50
	v_rcp_f32_e32 v85, v70
	v_fma_f32 v96, -v55, v71, 1.0
	v_div_scale_f32 v83, vcc_lo, v8, v20, v8
	v_fma_f32 v97, -v66, v80, 1.0
	v_fmac_f32_e32 v64, v87, v64
	v_rcp_f32_e32 v82, v68
	v_div_scale_f32 v86, s4, v9, v20, v9
	v_fma_f32 v98, -v67, v81, 1.0
	v_fmac_f32_e32 v71, v96, v71
	v_fma_f32 v87, -v69, v84, 1.0
	v_fmac_f32_e32 v80, v97, v80
	v_mul_f32_e32 v97, v83, v64
	v_fma_f32 v96, -v70, v85, 1.0
	v_fmac_f32_e32 v81, v98, v81
	v_mul_f32_e32 v98, v86, v71
	v_fmac_f32_e32 v84, v87, v84
	v_fma_f32 v87, -v54, v97, v83
	v_fma_f32 v99, -v68, v82, 1.0
	v_fmac_f32_e32 v85, v96, v85
	v_fma_f32 v96, -v55, v98, v86
	v_add_nc_u32_e32 v48, v17, v25
	v_fmac_f32_e32 v97, v87, v64
	v_fmac_f32_e32 v82, v99, v82
	v_div_scale_f32 v99, s5, v35, v20, v35
	v_div_scale_f32 v87, s6, v36, v27, v36
	v_fmac_f32_e32 v98, v96, v71
	s_waitcnt vmcnt(0) lgkmcnt(0)
	v_cvt_i32_f64_e32 v5, v[116:117]
	v_cvt_i32_f64_e32 v6, v[118:119]
	v_fma_f32 v54, -v54, v97, v83
	v_add3_u32 v48, v48, v12, v1
	v_div_scale_f32 v96, s7, v50, v27, v50
	v_mul_f32_e32 v83, v99, v80
	v_fma_f32 v55, -v55, v98, v86
	v_mul_f32_e32 v86, v87, v81
	v_div_fmas_f32 v54, v54, v64, v97
	s_mov_b32 vcc_lo, s4
	v_mul_f32_e32 v97, v96, v82
	v_fma_f32 v64, -v66, v83, v99
	v_div_fmas_f32 v55, v55, v71, v98
	v_fma_f32 v71, -v67, v86, v87
	v_div_scale_f32 v98, s4, v65, v27, v65
	v_add3_u32 v48, v48, v2, v3
	v_fmac_f32_e32 v83, v64, v80
	v_fma_f32 v64, -v68, v97, v96
	v_fmac_f32_e32 v86, v71, v81
	v_mul_f32_e32 v71, v98, v84
	v_add3_u32 v48, v48, v28, v21
	s_mov_b32 vcc_lo, s5
	v_fmac_f32_e32 v97, v64, v82
	v_fma_f32 v67, -v67, v86, v87
	v_fma_f32 v64, -v69, v71, v98
	v_add3_u32 v48, v48, v13, v4
	v_div_scale_f32 v100, s8, v53, v7, v53
	v_fma_f32 v68, -v68, v97, v96
	v_fmac_f32_e32 v71, v64, v84
	v_add3_u32 v64, v48, v5, v6
	v_fma_f32 v48, -v66, v83, v99
	v_mul_f32_e32 v66, v100, v85
	v_div_fixup_f32 v54, v54, v20, v8
	v_fma_f32 v69, -v69, v71, v98
	v_lshrrev_b32_e32 v87, 31, v64
	v_div_fmas_f32 v80, v48, v80, v83
	s_mov_b32 vcc_lo, s6
	v_fma_f32 v96, -v70, v66, v100
	v_div_fmas_f32 v67, v67, v81, v86
	s_mov_b32 vcc_lo, s7
	v_div_fixup_f32 v48, v55, v20, v9
	v_div_fmas_f32 v68, v68, v82, v97
	s_mov_b32 vcc_lo, s4
	v_fmac_f32_e32 v66, v96, v85
	v_div_fmas_f32 v8, v69, v84, v71
	v_div_fixup_f32 v55, v67, v27, v36
	v_div_fixup_f32 v50, v68, v27, v50
	;; [unrolled: 1-line block ×3, first 2 shown]
	v_fma_f32 v67, -v70, v66, v100
	v_div_fixup_f32 v36, v8, v27, v65
	v_sub_f32_e32 v8, v54, v55
	v_sub_f32_e32 v9, v48, v50
	s_mov_b32 vcc_lo, s8
	s_mov_b32 s4, exec_lo
	v_mul_f32_e32 v65, v9, v9
	v_div_fmas_f32 v9, v67, v85, v66
	v_sub_f32_e32 v66, v35, v36
	v_add_nc_u32_e32 v67, v64, v87
	v_fmac_f32_e32 v65, v8, v8
	v_div_fixup_f32 v8, v9, v7, v53
	v_ashrrev_i32_e32 v9, 1, v67
	v_fmac_f32_e32 v65, v66, v66
	v_mul_f32_e32 v65, v8, v65
	v_cmpx_lt_i32_e32 5, v64
	s_xor_b32 s8, exec_lo, s4
	s_cbranch_execz .LBB0_82
; %bb.1:
	s_mov_b32 s4, exec_lo
	v_cmpx_lt_i32_e32 3, v9
	s_xor_b32 s9, exec_lo, s4
	s_cbranch_execz .LBB0_41
; %bb.2:
	s_mov_b32 s10, exec_lo
	v_cmpx_eq_u32_e32 4, v9
	s_cbranch_execz .LBB0_40
; %bb.3:
                                        ; implicit-def: $vgpr66
                                        ; implicit-def: $vgpr71
                                        ; implicit-def: $vgpr80
                                        ; implicit-def: $vgpr81
                                        ; implicit-def: $vgpr83
                                        ; implicit-def: $vgpr84
                                        ; implicit-def: $vgpr70
                                        ; implicit-def: $vgpr69
                                        ; implicit-def: $vgpr68
                                        ; implicit-def: $vgpr67
	s_mov_b32 s4, exec_lo
	v_cmpx_ngt_f32_e32 0x34a10fb0, v65
	s_xor_b32 s11, exec_lo, s4
	s_cbranch_execz .LBB0_37
; %bb.4:
                                        ; implicit-def: $vgpr66
                                        ; implicit-def: $vgpr71
                                        ; implicit-def: $vgpr80
                                        ; implicit-def: $vgpr81
                                        ; implicit-def: $vgpr83
                                        ; implicit-def: $vgpr84
                                        ; implicit-def: $vgpr70
                                        ; implicit-def: $vgpr69
                                        ; implicit-def: $vgpr68
                                        ; implicit-def: $vgpr67
	s_mov_b32 s4, exec_lo
	v_cmpx_ngt_f32_e32 1.0, v65
	s_xor_b32 s12, exec_lo, s4
	s_cbranch_execz .LBB0_34
; %bb.5:
                                        ; implicit-def: $vgpr66
                                        ; implicit-def: $vgpr71
                                        ; implicit-def: $vgpr80
                                        ; implicit-def: $vgpr81
                                        ; implicit-def: $vgpr83
                                        ; implicit-def: $vgpr84
                                        ; implicit-def: $vgpr70
                                        ; implicit-def: $vgpr69
                                        ; implicit-def: $vgpr68
                                        ; implicit-def: $vgpr67
	s_mov_b32 s4, exec_lo
	v_cmpx_ngt_f32_e32 0x40a00000, v65
	s_xor_b32 s13, exec_lo, s4
	s_cbranch_execz .LBB0_31
; %bb.6:
                                        ; implicit-def: $vgpr66
                                        ; implicit-def: $vgpr71
                                        ; implicit-def: $vgpr80
                                        ; implicit-def: $vgpr81
                                        ; implicit-def: $vgpr83
                                        ; implicit-def: $vgpr84
                                        ; implicit-def: $vgpr70
                                        ; implicit-def: $vgpr69
                                        ; implicit-def: $vgpr68
                                        ; implicit-def: $vgpr67
	s_mov_b32 s4, exec_lo
	v_cmpx_ngt_f32_e32 0x41200000, v65
	;; [unrolled: 15-line block ×6, first 2 shown]
	s_xor_b32 s18, exec_lo, s4
	s_cbranch_execz .LBB0_16
; %bb.11:
	v_div_scale_f32 v66, null, v65, v65, 0x3f490fdb
	v_div_scale_f32 v69, vcc_lo, 0x3f490fdb, v65, 0x3f490fdb
                                        ; implicit-def: $vgpr80
                                        ; implicit-def: $vgpr81
                                        ; implicit-def: $vgpr83
                                        ; implicit-def: $vgpr84
	v_rcp_f32_e32 v67, v66
	v_fma_f32 v68, -v66, v67, 1.0
	v_fmac_f32_e32 v67, v68, v67
	v_mul_f32_e32 v68, v69, v67
	v_fma_f32 v70, -v66, v68, v69
	v_fmac_f32_e32 v68, v70, v67
	v_fma_f32 v66, -v66, v68, v69
	v_div_fmas_f32 v66, v66, v67, v68
	v_div_fixup_f32 v66, v66, v65, 0x3f490fdb
	v_mul_f32_e32 v67, 0x4f800000, v66
	v_cmp_gt_f32_e32 vcc_lo, 0xf800000, v66
	v_cndmask_b32_e32 v66, v66, v67, vcc_lo
	v_sqrt_f32_e32 v67, v66
	v_add_nc_u32_e32 v68, -1, v67
	v_add_nc_u32_e32 v69, 1, v67
	v_fma_f32 v70, -v68, v67, v66
	v_fma_f32 v71, -v69, v67, v66
	v_cmp_ge_f32_e64 s4, 0, v70
                                        ; implicit-def: $vgpr70
	v_cndmask_b32_e64 v67, v67, v68, s4
	v_cmp_lt_f32_e64 s4, 0, v71
                                        ; implicit-def: $vgpr71
	v_cndmask_b32_e64 v67, v67, v69, s4
	v_cmp_class_f32_e64 s4, v66, 0x260
                                        ; implicit-def: $vgpr69
	v_mul_f32_e32 v68, 0x37800000, v67
	v_cndmask_b32_e32 v67, v67, v68, vcc_lo
                                        ; implicit-def: $vgpr68
	v_cndmask_b32_e64 v82, v67, v66, s4
                                        ; implicit-def: $vgpr66
                                        ; implicit-def: $vgpr67
	s_mov_b32 s4, exec_lo
	v_cmpx_ngt_f32_e32 0x426c0000, v65
	s_xor_b32 s19, exec_lo, s4
	s_cbranch_execz .LBB0_13
; %bb.12:
	v_add_f32_e32 v66, 0xbdf0ce7a, v65
	v_add_f32_e32 v67, 0xbf898b3f, v65
	;; [unrolled: 1-line block ×5, first 2 shown]
	v_div_scale_f32 v68, null, v66, v66, 0x3df0ce7a
	v_div_scale_f32 v70, null, v67, v67, 0x3f898b3f
	;; [unrolled: 1-line block ×3, first 2 shown]
	v_rcp_f32_e32 v71, v68
	v_rcp_f32_e32 v83, v70
	v_div_scale_f32 v84, vcc_lo, 0x3df0ce7a, v66, 0x3df0ce7a
	v_rcp_f32_e32 v85, v81
	v_div_scale_f32 v96, null, v80, v80, 0x40cd4577
	v_div_scale_f32 v87, s4, 0x3f898b3f, v67, 0x3f898b3f
	v_div_scale_f32 v100, s5, 0x40458000, v69, 0x40458000
	v_fma_f32 v86, -v68, v71, 1.0
	v_fma_f32 v97, -v70, v83, 1.0
	v_rcp_f32_e32 v98, v96
	v_fma_f32 v99, -v81, v85, 1.0
	v_div_scale_f32 v103, s6, 0x40cd4577, v80, 0x40cd4577
	v_fmac_f32_e32 v71, v86, v71
	v_div_scale_f32 v86, null, v65, v65, 0x413cea40
	v_fmac_f32_e32 v83, v97, v83
	v_fmac_f32_e32 v85, v99, v85
	v_mul_f32_e32 v97, v84, v71
	v_rcp_f32_e32 v101, v86
	v_fma_f32 v112, -v96, v98, 1.0
	v_mul_f32_e32 v99, v87, v83
	v_mul_f32_e32 v113, v100, v85
	v_fma_f32 v102, -v68, v97, v84
	v_fmac_f32_e32 v98, v112, v98
	v_fma_f32 v114, -v70, v99, v87
	v_fma_f32 v112, -v81, v113, v100
	v_fmac_f32_e32 v97, v102, v71
	v_fma_f32 v102, -v86, v101, 1.0
	v_fmac_f32_e32 v99, v114, v83
	v_fmac_f32_e32 v113, v112, v85
	v_fma_f32 v68, -v68, v97, v84
	v_fmac_f32_e32 v101, v102, v101
	v_div_scale_f32 v84, s7, 0x413cea40, v65, 0x413cea40
	v_fma_f32 v70, -v70, v99, v87
	v_div_fmas_f32 v68, v68, v71, v97
	v_mul_f32_e32 v71, v103, v98
	v_mul_f32_e32 v97, v84, v101
	v_fma_f32 v81, -v81, v113, v100
	s_mov_b32 vcc_lo, s4
	v_div_fixup_f32 v66, v68, v66, 0x3df0ce7a
	v_fma_f32 v68, -v96, v71, v103
	v_fma_f32 v87, -v86, v97, v84
	v_div_fmas_f32 v70, v70, v83, v99
	s_mov_b32 vcc_lo, s5
	v_fmac_f32_e32 v71, v68, v98
	v_fmac_f32_e32 v97, v87, v101
	v_div_fmas_f32 v68, v81, v85, v113
	s_mov_b32 vcc_lo, s6
	v_div_fixup_f32 v67, v70, v67, 0x3f898b3f
	v_fma_f32 v81, -v96, v71, v103
	v_fma_f32 v83, -v86, v97, v84
	v_fmamk_f32 v84, v82, 0xbe8abc3d, v82
	v_div_fixup_f32 v68, v68, v69, 0x40458000
	v_div_fmas_f32 v71, v81, v98, v71
	s_mov_b32 vcc_lo, s7
	v_div_fmas_f32 v81, v83, v101, v97
	v_fmamk_f32 v83, v82, 0xbd1c8fe4, v84
	v_div_fixup_f32 v69, v71, v80, 0x40cd4577
	v_mul_f32_e32 v80, 0x3ac6b947, v82
	v_mul_f32_e32 v71, 0x3710a439, v82
	v_div_fixup_f32 v70, v81, v65, 0x413cea40
	v_fmamk_f32 v65, v82, 0xbac6b947, v83
	v_mul_f32_e32 v83, 0x3e8abc3d, v82
	v_mul_f32_e32 v81, 0x3d1c8fe4, v82
	v_fmamk_f32 v84, v82, 0xb710a439, v65
                                        ; implicit-def: $vgpr65
                                        ; implicit-def: $vgpr82
.LBB0_13:
	s_andn2_saveexec_b32 s4, s19
	s_cbranch_execz .LBB0_15
; %bb.14:
	v_cmp_eq_f32_e32 vcc_lo, 1.0, v65
	v_frexp_mant_f32_e32 v66, v65
	s_mov_b32 s5, 0x3e76c4e1
	v_cndmask_b32_e64 v68, 0x40400000, 1.0, vcc_lo
	v_cmp_gt_f32_e32 vcc_lo, 0x3f2aaaab, v66
	v_cndmask_b32_e64 v67, 1.0, 2.0, vcc_lo
	v_mul_f32_e32 v66, v66, v67
	v_add_f32_e32 v69, 1.0, v66
	v_add_f32_e32 v67, -1.0, v66
	v_add_f32_e32 v70, -1.0, v69
	v_sub_f32_e32 v66, v66, v70
	v_rcp_f32_e32 v70, v69
	v_mul_f32_e32 v71, v67, v70
	v_mul_f32_e32 v80, v69, v71
	v_fma_f32 v69, v71, v69, -v80
	v_fmac_f32_e32 v69, v71, v66
	v_add_f32_e32 v66, v80, v69
	v_sub_f32_e32 v81, v67, v66
	v_sub_f32_e32 v80, v66, v80
	;; [unrolled: 1-line block ×5, first 2 shown]
	v_add_f32_e32 v66, v67, v66
	v_add_f32_e32 v66, v81, v66
	v_mul_f32_e32 v66, v70, v66
	v_add_f32_e32 v69, v71, v66
	v_sub_f32_e32 v67, v69, v71
	v_sub_f32_e32 v70, v66, v67
	v_mul_f32_e32 v66, v69, v69
	v_add_f32_e32 v71, v70, v70
	v_fma_f32 v67, v69, v69, -v66
	v_fmac_f32_e32 v67, v69, v71
	v_add_f32_e32 v71, v66, v67
	v_sub_f32_e32 v66, v71, v66
	v_fmaak_f32 v80, s5, v71, 0x3e91f4c4
	s_mov_b32 s5, 0xbcc7afde
	v_sub_f32_e32 v66, v67, v66
	v_mul_f32_e32 v67, v69, v71
	v_fmaak_f32 v80, v71, v80, 0x3ecccdef
	v_fma_f32 v81, v71, v69, -v67
	v_fmac_f32_e32 v81, v71, v70
	v_ldexp_f32 v70, v70, 1
	v_fmac_f32_e32 v81, v66, v69
	v_ldexp_f32 v69, v69, 1
	v_add_f32_e32 v83, v67, v81
	v_sub_f32_e32 v67, v83, v67
	v_sub_f32_e32 v67, v81, v67
	v_mul_f32_e32 v81, v71, v80
	v_fma_f32 v71, v71, v80, -v81
	v_fmac_f32_e32 v71, v66, v80
	v_add_f32_e32 v66, v81, v71
	v_add_f32_e32 v80, 0x3f2aaaaa, v66
	v_sub_f32_e32 v81, v66, v81
	v_sub_f32_e32 v71, v71, v81
	v_add_f32_e32 v81, 0xbf2aaaaa, v80
	v_add_f32_e32 v71, 0x31739010, v71
	v_sub_f32_e32 v66, v66, v81
	v_add_f32_e32 v66, v71, v66
	v_add_f32_e32 v71, v80, v66
	v_sub_f32_e32 v80, v80, v71
	v_add_f32_e32 v66, v66, v80
	v_mul_f32_e32 v80, v83, v71
	v_fma_f32 v81, v83, v71, -v80
	v_fmac_f32_e32 v81, v83, v66
	v_fmac_f32_e32 v81, v67, v71
	v_cvt_f64_f32_e32 v[66:67], v65
	v_frexp_exp_i32_f64_e32 v66, v[66:67]
	v_subrev_co_ci_u32_e64 v66, null, 0, v66, vcc_lo
	v_cvt_f32_i32_e32 v66, v66
	v_mul_f32_e32 v67, 0x3f317218, v66
	v_fma_f32 v71, 0x3f317218, v66, -v67
	v_fmamk_f32 v66, v66, 0xb102e308, v71
	v_add_f32_e32 v71, v67, v66
	v_sub_f32_e32 v67, v71, v67
	v_sub_f32_e32 v66, v66, v67
	v_add_f32_e32 v67, v80, v81
	v_sub_f32_e32 v80, v67, v80
	v_sub_f32_e32 v80, v81, v80
	;; [unrolled: 3-line block ×3, first 2 shown]
	v_add_f32_e32 v69, v70, v80
	v_add_f32_e32 v67, v69, v67
	;; [unrolled: 1-line block ×3, first 2 shown]
	v_sub_f32_e32 v70, v69, v81
	v_sub_f32_e32 v67, v67, v70
	v_add_f32_e32 v70, v71, v69
	v_sub_f32_e32 v80, v70, v71
	v_sub_f32_e32 v81, v70, v80
	;; [unrolled: 1-line block ×4, first 2 shown]
	v_add_f32_e32 v69, v69, v71
	v_add_f32_e32 v71, v66, v67
	v_sub_f32_e32 v80, v71, v66
	v_sub_f32_e32 v81, v71, v80
	;; [unrolled: 1-line block ×4, first 2 shown]
	v_add_f32_e32 v66, v67, v66
	v_add_f32_e32 v67, v71, v69
	;; [unrolled: 1-line block ×3, first 2 shown]
	v_sub_f32_e32 v70, v69, v70
	v_sub_f32_e32 v67, v67, v70
	v_add_f32_e32 v66, v66, v67
	v_add_f32_e32 v67, v69, v66
	v_sub_f32_e32 v69, v67, v69
	v_sub_f32_e32 v66, v66, v69
	v_mul_f32_e32 v69, v68, v67
	v_fma_f32 v67, v68, v67, -v69
	v_cmp_class_f32_e64 vcc_lo, v69, 0x204
	v_fmac_f32_e32 v67, v68, v66
	v_add_f32_e32 v66, v69, v67
	v_sub_f32_e32 v68, v66, v69
	v_cndmask_b32_e32 v66, v66, v69, vcc_lo
	v_sub_f32_e32 v67, v67, v68
	v_cmp_neq_f32_e64 vcc_lo, 0x7f800000, |v66|
	v_cndmask_b32_e32 v67, 0, v67, vcc_lo
	v_cmp_eq_f32_e32 vcc_lo, 0x42b17218, v66
	v_cndmask_b32_e64 v68, 0, 0x37000000, vcc_lo
	v_sub_f32_e32 v66, v66, v68
	v_add_f32_e32 v67, v68, v67
	v_mul_f32_e32 v68, 0x3fb8aa3b, v66
	v_cmp_ngt_f32_e32 vcc_lo, 0xc2ce8ed0, v66
	v_fma_f32 v69, 0x3fb8aa3b, v66, -v68
	v_rndne_f32_e32 v70, v68
	v_fmamk_f32 v69, v66, 0x32a5705f, v69
	v_sub_f32_e32 v68, v68, v70
	v_add_f32_e32 v68, v68, v69
	v_cvt_i32_f32_e32 v69, v70
	v_exp_f32_e32 v68, v68
	v_ldexp_f32 v68, v68, v69
	v_cndmask_b32_e32 v68, 0, v68, vcc_lo
	v_cmp_nlt_f32_e32 vcc_lo, 0x42b17218, v66
	v_cndmask_b32_e32 v66, 0x7f800000, v68, vcc_lo
	v_fma_f32 v67, v66, v67, v66
	v_cmp_class_f32_e64 vcc_lo, v66, 0x204
	v_cndmask_b32_e32 v71, v67, v66, vcc_lo
	v_mul_f32_e32 v66, 0xbfb8aa3b, v65
	v_cmp_nlt_f32_e32 vcc_lo, 0x42ce8ed0, v65
	v_rndne_f32_e32 v67, v66
	v_sub_f32_e32 v68, v66, v67
	v_fma_f32 v66, 0xbfb8aa3b, v65, -v66
	v_cvt_i32_f32_e32 v67, v67
	v_fmamk_f32 v66, v65, 0xb2a5705f, v66
	v_add_f32_e32 v66, v68, v66
	v_exp_f32_e32 v66, v66
	v_ldexp_f32 v66, v66, v67
	v_cndmask_b32_e32 v66, 0, v66, vcc_lo
	v_cmp_ngt_f32_e32 vcc_lo, 0xc2b17218, v65
	v_cndmask_b32_e32 v66, 0x7f800000, v66, vcc_lo
	v_mul_f32_e64 v80, v66, |v71|
	v_fmaak_f32 v66, s5, v65, 0x4004ac4a
	s_mov_b32 s5, 0xbe6a5aca
	v_fmaak_f32 v66, v65, v66, 0xc281315e
	v_fmaak_f32 v67, v65, v66, 0x44328a3f
	v_add_f32_e32 v66, 0xbdf0ce7a, v65
	v_div_scale_f32 v68, null, v66, v66, 0x3df0ce7a
	v_rcp_f32_e32 v69, v68
	v_fma_f32 v70, -v68, v69, 1.0
	v_fmac_f32_e32 v69, v70, v69
	v_div_scale_f32 v70, vcc_lo, 0x3df0ce7a, v66, 0x3df0ce7a
	v_mul_f32_e32 v81, v70, v69
	v_fma_f32 v83, -v68, v81, v70
	v_fmac_f32_e32 v81, v83, v69
	v_fma_f32 v68, -v68, v81, v70
	v_div_fmas_f32 v68, v68, v69, v81
	v_div_fixup_f32 v66, v68, v66, 0x3df0ce7a
	v_fmac_f32_e32 v66, v67, v80
	v_fmaak_f32 v67, s5, v65, 0x419a8d79
	s_mov_b32 s5, 0xbf31eeff
	v_fmaak_f32 v67, v65, v67, 0xc415f195
	v_fmaak_f32 v68, v65, v67, 0x45ced389
	v_add_f32_e32 v67, 0xbf898b3f, v65
	v_div_scale_f32 v69, null, v67, v67, 0x3f898b3f
	v_rcp_f32_e32 v70, v69
	v_fma_f32 v81, -v69, v70, 1.0
	v_fmac_f32_e32 v70, v81, v70
	v_div_scale_f32 v81, vcc_lo, 0x3f898b3f, v67, 0x3f898b3f
	v_mul_f32_e32 v83, v81, v70
	v_fma_f32 v84, -v69, v83, v81
	v_fmac_f32_e32 v83, v84, v70
	v_fma_f32 v69, -v69, v83, v81
	v_div_fmas_f32 v69, v69, v70, v83
	v_div_fixup_f32 v67, v69, v67, 0x3f898b3f
	v_fmac_f32_e32 v67, v68, v80
	;; [unrolled: 17-line block ×4, first 2 shown]
	v_fmaak_f32 v70, s5, v65, 0x437bd497
	s_mov_b32 s5, 0x3268c1ce
	v_fmaak_f32 v70, v65, v70, 0xc5ecca48
	v_fmaak_f32 v81, v65, v70, 0x47a08a57
	v_add_f32_e32 v70, 0xc13cea40, v65
	v_div_scale_f32 v83, null, v70, v70, 0x413cea40
	v_rcp_f32_e32 v84, v83
	v_fma_f32 v85, -v83, v84, 1.0
	v_fmac_f32_e32 v84, v85, v84
	v_div_scale_f32 v85, vcc_lo, 0x413cea40, v70, 0x413cea40
	v_mul_f32_e32 v86, v85, v84
	v_fma_f32 v87, -v83, v86, v85
	v_fmac_f32_e32 v86, v87, v84
	v_fma_f32 v83, -v83, v86, v85
	v_div_fmas_f32 v83, v83, v84, v86
	v_div_fixup_f32 v70, v83, v70, 0x413cea40
	v_mul_f32_e64 v83, |v71|, v80
	v_fmaak_f32 v71, s5, v65, 0xb4aff1cc
	s_mov_b32 s5, 0x35a5b5f0
	v_fmac_f32_e32 v70, v81, v80
	v_fmaak_f32 v80, s5, v65, 0xb814fdf2
	s_mov_b32 s5, 0x3761bbe5
	v_fmaak_f32 v71, v65, v71, 0x36221549
	v_fmaak_f32 v81, s5, v65, 0xb9dbe18f
	s_mov_b32 s5, 0x37afc644
	v_fmaak_f32 v80, v65, v80, 0x399f00d6
	v_fmaak_f32 v84, s5, v65, 0xba34432f
	v_mul_f32_e32 v71, v71, v83
	v_fmaak_f32 v81, v65, v81, 0x3b7e1663
	v_mul_f32_e32 v80, v80, v83
	v_fmaak_f32 v65, v65, v84, 0x3bdb224c
	v_fmamk_f32 v71, v82, 0x3710a439, v71
	v_mul_f32_e32 v81, v81, v83
	v_fmamk_f32 v80, v82, 0x3ac6b947, v80
	v_mul_f32_e32 v65, v65, v83
	v_fmamk_f32 v81, v82, 0x3d1c8fe4, v81
	v_fmamk_f32 v83, v82, 0x3e8abc3d, v65
	v_sub_f32_e32 v65, v82, v83
	v_sub_f32_e32 v65, v65, v81
	;; [unrolled: 1-line block ×4, first 2 shown]
.LBB0_15:
	s_or_b32 exec_lo, exec_lo, s4
                                        ; implicit-def: $vgpr65
.LBB0_16:
	s_andn2_saveexec_b32 s7, s18
	s_cbranch_execz .LBB0_18
; %bb.17:
	v_div_scale_f32 v66, null, v65, v65, 0x3f490fdb
	v_div_scale_f32 v68, vcc_lo, 0x3f490fdb, v65, 0x3f490fdb
	v_mul_f32_e32 v69, 0xbfb8aa3b, v65
	v_rcp_f32_e32 v67, v66
	v_add_f32_e32 v70, 0xbdf0ce7a, v65
	s_mov_b32 s4, 0xb5e8af67
	s_mov_b32 s5, 0xb7864dc2
	v_rndne_f32_e32 v86, v69
	v_fma_f32 v87, 0xbfb8aa3b, v65, -v69
	s_mov_b32 s6, 0xb83c4620
	v_add_f32_e32 v71, 0xbf898b3f, v65
	v_fmaak_f32 v83, s4, v65, 0x38fb7e46
	v_fmaak_f32 v84, s5, v65, 0x3a909d07
	v_fma_f32 v81, -v66, v67, 1.0
	v_div_scale_f32 v97, null, v70, v70, 0x3df0ce7a
	v_div_scale_f32 v100, null, v71, v71, 0x3f898b3f
	v_fmac_f32_e32 v67, v81, v67
	v_fmaak_f32 v81, s6, v65, 0x3b304eed
	v_fmaak_f32 v83, v65, v83, 0xbc829c7e
	v_div_scale_f32 v98, s4, 0x3df0ce7a, v70, 0x3df0ce7a
	v_mul_f32_e32 v96, v68, v67
	v_add_f32_e32 v80, 0xc0458000, v65
	v_fmaak_f32 v83, v65, v83, 0x3f913d29
	v_div_scale_f32 v101, s5, 0x3f898b3f, v71, 0x3f898b3f
	v_fma_f32 v99, -v66, v96, v68
	v_add_f32_e32 v82, 0xc0cd4577, v65
	v_fmaak_f32 v81, v65, v81, 0xbecd562e
	s_mov_b32 s18, 0xb885e8a0
	v_fmaak_f32 v85, s18, v65, 0xbb16400c
	v_fmac_f32_e32 v96, v99, v67
	v_div_scale_f32 v99, null, v80, v80, 0x40458000
	v_div_scale_f32 v102, null, v82, v82, 0x40cd4577
	v_fma_f32 v66, -v66, v96, v68
	v_fmaak_f32 v68, v65, v84, 0xbe19a50c
	v_cvt_i32_f32_e32 v84, v86
	v_rcp_f32_e32 v103, v102
	v_fmaak_f32 v81, v65, v81, 0x41deb022
	v_div_fmas_f32 v66, v66, v67, v96
	v_sub_f32_e32 v67, v69, v86
	v_fmamk_f32 v69, v65, 0xb2a5705f, v87
	v_rcp_f32_e32 v86, v97
	v_rcp_f32_e32 v87, v100
	v_div_fixup_f32 v66, v66, v65, 0x3f490fdb
	v_fmaak_f32 v68, v65, v68, 0x4128e6de
	v_add_f32_e32 v67, v67, v69
	v_rcp_f32_e32 v96, v99
	v_mul_f32_e32 v112, 0x4f800000, v66
	v_cmp_gt_f32_e64 s6, 0xf800000, v66
	v_exp_f32_e32 v67, v67
	v_fmaak_f32 v68, v65, v68, 0xc3cd3c02
	v_fma_f32 v113, -v100, v87, 1.0
	v_cndmask_b32_e64 v69, v66, v112, s6
	v_fmaak_f32 v66, v65, v83, 0xc232e2f7
	v_fma_f32 v83, -v97, v86, 1.0
	v_fmac_f32_e32 v87, v113, v87
	v_fmaak_f32 v68, v65, v68, 0x4616682d
	v_sqrt_f32_e32 v112, v69
	v_fmaak_f32 v66, v65, v66, 0x4484d064
	v_fmac_f32_e32 v86, v83, v86
	v_ldexp_f32 v67, v67, v84
	v_mul_f32_e32 v84, v101, v87
	v_fmaak_f32 v68, v65, v68, 0xc804b404
	v_fmaak_f32 v66, v65, v66, 0xc66d9d91
	v_mul_f32_e32 v113, v98, v86
	v_fma_f32 v83, -v99, v96, 1.0
	v_add_nc_u32_e32 v114, -1, v112
	v_add_nc_u32_e32 v116, 1, v112
	v_fma_f32 v115, -v97, v113, v98
	v_fmaak_f32 v66, v65, v66, 0x47ebab72
	v_fmaak_f32 v68, v65, v68, 0x4981869e
	v_fma_f32 v117, -v114, v112, v69
	v_fmac_f32_e32 v96, v83, v96
	v_fmac_f32_e32 v113, v115, v86
	v_fma_f32 v115, -v116, v112, v69
	v_cmp_ge_f32_e32 vcc_lo, 0, v117
	v_fma_f32 v97, -v97, v113, v98
	v_cndmask_b32_e32 v112, v112, v114, vcc_lo
	v_cmp_nlt_f32_e32 vcc_lo, 0x42ce8ed0, v65
	v_fma_f32 v114, -v100, v84, v101
	v_cndmask_b32_e32 v67, 0, v67, vcc_lo
	v_cmp_lt_f32_e32 vcc_lo, 0, v115
	v_fmac_f32_e32 v84, v114, v87
	v_cndmask_b32_e32 v98, v112, v116, vcc_lo
	s_mov_b32 vcc_lo, s4
	v_fmaak_f32 v112, v65, v66, 0xc8c6d24c
	v_div_fmas_f32 v66, v97, v86, v113
	v_cmp_ngt_f32_e32 vcc_lo, 0xc2b17218, v65
	v_mul_f32_e32 v86, 0x37800000, v98
	v_div_fixup_f32 v66, v66, v70, 0x3df0ce7a
	v_cndmask_b32_e32 v97, 0x7f800000, v67, vcc_lo
	v_cndmask_b32_e64 v67, v98, v86, s6
	v_cmp_class_f32_e64 vcc_lo, v69, 0x260
	v_fmaak_f32 v86, v65, v68, 0xca565990
	v_fma_f32 v68, -v100, v84, v101
	v_fmaak_f32 v70, v65, v81, 0xc4831d5a
	s_mov_b32 s6, 0xb81698a2
	v_cndmask_b32_e32 v98, v67, v69, vcc_lo
	v_div_scale_f32 v69, s4, 0x40458000, v80, 0x40458000
	s_mov_b32 vcc_lo, s5
	v_fmaak_f32 v67, v65, v85, 0xbd9cd29e
	v_div_fmas_f32 v68, v68, v87, v84
	v_mul_f32_e32 v81, v69, v96
	v_fma_f32 v84, -v102, v103, 1.0
	s_mov_b32 vcc_lo, s4
	v_fmaak_f32 v83, v65, v67, 0x411207e1
	v_div_fixup_f32 v67, v68, v71, 0x3f898b3f
	v_fmaak_f32 v68, v65, v70, 0x46b92530
	v_fma_f32 v70, -v99, v81, v69
	v_fmac_f32_e32 v103, v84, v103
	v_fmaak_f32 v71, v65, v83, 0xc36813b9
	v_div_scale_f32 v83, s5, 0x40cd4577, v82, 0x40cd4577
	v_fmaak_f32 v84, s6, v65, 0xbcb91c15
	v_fmac_f32_e32 v81, v70, v96
	v_fmaak_f32 v68, v65, v68, 0xc89c0214
	v_fmaak_f32 v70, v65, v71, 0x438ceb77
	v_mul_f32_e32 v71, v83, v103
	v_fmaak_f32 v84, v65, v84, 0x3f901f16
	v_fma_f32 v69, -v99, v81, v69
	v_fmaak_f32 v68, v65, v68, 0x4a0f5bf4
	v_fmaak_f32 v70, v65, v70, 0x47bb687c
	v_fma_f32 v85, -v102, v71, v83
	v_fmaak_f32 v84, v65, v84, 0xc236b374
	v_div_fmas_f32 v69, v69, v96, v81
	s_mov_b32 s4, 0x37e90472
	v_fmaak_f32 v70, v65, v70, 0xc9d8d82d
	v_fmac_f32_e32 v71, v85, v103
	v_fmaak_f32 v81, v65, v84, 0x44844173
	v_fmaak_f32 v84, v65, v68, 0xcada9c2f
	v_div_fixup_f32 v68, v69, v80, 0x40458000
	v_fmaak_f32 v80, s4, v65, 0xbb120983
	s_mov_b32 s4, 0xb2ced85b
	s_mov_b32 s6, 0x3799fe51
	v_fmaak_f32 v85, v65, v70, 0x4b1c6310
	v_fma_f32 v69, -v102, v71, v83
	v_fmaak_f32 v70, v65, v81, 0xc6354148
	v_add_f32_e32 v87, 0xc13cea40, v65
	v_fmaak_f32 v81, s4, v65, 0x370855d6
	v_fmaak_f32 v83, s6, v65, 0xbacaf300
	;; [unrolled: 1-line block ×3, first 2 shown]
	s_mov_b32 vcc_lo, s5
	s_mov_b32 s5, 0xaffd7e2f
	v_div_fmas_f32 v69, v69, v103, v71
	v_div_scale_f32 v71, null, v87, v87, 0x413cea40
	v_fmaak_f32 v99, s5, v65, 0x34199ec3
	v_fmaak_f32 v81, v65, v81, 0xba6d1b64
	;; [unrolled: 1-line block ×4, first 2 shown]
	v_rcp_f32_e32 v96, v71
	v_fmaak_f32 v99, v65, v99, 0xb7898a57
	v_fmaak_f32 v81, v65, v81, 0x3d829922
	;; [unrolled: 1-line block ×9, first 2 shown]
	v_fma_f32 v100, -v71, v96, 1.0
	v_fmaak_f32 v99, v65, v99, 0xbd5952a9
	v_fmaak_f32 v81, v65, v81, 0x42b7074a
	;; [unrolled: 1-line block ×4, first 2 shown]
	v_fmac_f32_e32 v96, v100, v96
	v_div_scale_f32 v100, vcc_lo, 0x413cea40, v87, 0x413cea40
	v_fmaak_f32 v99, v65, v99, 0x3fce47c6
	v_fmaak_f32 v81, v65, v81, 0xc4e9b6ff
	;; [unrolled: 1-line block ×4, first 2 shown]
	v_mul_f32_e32 v101, v100, v96
	v_fmaak_f32 v99, v65, v99, 0xc2014c9c
	v_fmaak_f32 v81, v65, v81, 0x46bdcd1b
	;; [unrolled: 1-line block ×4, first 2 shown]
	v_fma_f32 v102, -v71, v101, v100
	v_fmaak_f32 v99, v65, v99, 0x43ce00f0
	v_fmaak_f32 v81, v65, v81, 0xc831971e
	;; [unrolled: 1-line block ×3, first 2 shown]
	v_mul_f32_e32 v80, v97, v80
	v_fmac_f32_e32 v101, v102, v96
	v_fmaak_f32 v99, v65, v99, 0xc53ce99c
	v_fmaak_f32 v81, v65, v81, 0x4911b76c
	v_mul_f32_e32 v102, v97, v83
	v_fmamk_f32 v83, v98, 0x3e8abc3d, v80
	v_fmamk_f32 v80, v97, 0xbca0ba1f, v98
	v_fma_f32 v71, -v71, v101, v100
	v_fmaak_f32 v99, v65, v99, 0x4617cf01
	v_mul_f32_e32 v100, v97, v81
	v_fmamk_f32 v81, v98, 0x3d1c8fe4, v102
	v_sub_f32_e32 v102, v80, v83
	v_fmaak_f32 v70, v65, v70, 0x4a07a12d
	v_div_fmas_f32 v71, v71, v96, v101
	v_mul_f32_e32 v96, v97, v99
	v_fmamk_f32 v80, v98, 0x3ac6b947, v100
	v_sub_f32_e32 v99, v102, v81
	v_div_fixup_f32 v69, v69, v82, 0x40cd4577
	v_fmaak_f32 v65, v65, v70, 0xcb75f75e
	v_div_fixup_f32 v70, v71, v87, 0x413cea40
	v_fmamk_f32 v71, v98, 0x3710a439, v96
	v_sub_f32_e32 v82, v99, v80
	v_fmac_f32_e32 v66, v97, v112
	v_fmac_f32_e32 v67, v97, v86
	;; [unrolled: 1-line block ×5, first 2 shown]
	v_sub_f32_e32 v84, v82, v71
.LBB0_18:
	s_or_b32 exec_lo, exec_lo, s7
                                        ; implicit-def: $vgpr65
.LBB0_19:
	s_andn2_saveexec_b32 s4, s17
	s_cbranch_execz .LBB0_21
; %bb.20:
	v_add_f32_e32 v65, 0xc1b40000, v65
	s_mov_b32 s6, 0x25a7199c
	s_mov_b32 s7, 0x270e00c0
	;; [unrolled: 1-line block ×4, first 2 shown]
	v_fmaak_f32 v66, s6, v65, 0xa85c4f36
	v_fmaak_f32 v67, s7, v65, 0xa95c6a33
	;; [unrolled: 1-line block ×4, first 2 shown]
	s_mov_b32 s5, 0x9dd50ccf
	v_fmaak_f32 v66, v65, v66, 0x298b40b5
	v_fmaak_f32 v67, v65, v67, 0x29ffe8d7
	;; [unrolled: 1-line block ×4, first 2 shown]
	s_mov_b32 s6, 0xa988b248
	v_fmaak_f32 v66, v65, v66, 0x2be831fd
	v_fmaak_f32 v67, v65, v67, 0x2d04c115
	;; [unrolled: 1-line block ×9, first 2 shown]
	s_mov_b32 s6, 0xa823fdf6
	v_fmaak_f32 v66, v65, v66, 0x2e2329ea
	v_fmaak_f32 v67, v65, v67, 0xaeb66e22
	;; [unrolled: 1-line block ×32, first 2 shown]
	s_mov_b32 s5, 0xa21e6225
	v_fmaak_f32 v68, v65, v80, 0x3e227f7e
	v_fmaak_f32 v80, s5, v65, 0xa2352a85
	;; [unrolled: 1-line block ×5, first 2 shown]
	s_mov_b32 s5, 0x27c70426
	v_fmaak_f32 v80, v65, v80, 0x26309378
	s_mov_b32 s6, 0x278feb72
	v_fmaak_f32 v71, v65, v71, 0x241ad803
	v_fmaak_f32 v82, s5, v65, 0xa990e2e4
	;; [unrolled: 1-line block ×54, first 2 shown]
.LBB0_21:
	s_or_b32 exec_lo, exec_lo, s4
                                        ; implicit-def: $vgpr65
.LBB0_22:
	s_andn2_saveexec_b32 s4, s16
	s_cbranch_execz .LBB0_24
; %bb.23:
	v_add_f32_e32 v65, 0xc18c0000, v65
	s_mov_b32 s16, 0xa752b1bb
	s_mov_b32 s5, 0x255d37bb
	;; [unrolled: 1-line block ×4, first 2 shown]
	v_fmaak_f32 v67, s16, v65, 0x28aee06f
	v_fmaak_f32 v66, s5, v65, 0x2661d98f
	s_mov_b32 s5, 0x285486e3
	v_fmaak_f32 v69, s6, v65, 0x28371982
	v_fmaak_f32 v68, s5, v65, 0x2a0bc999
	;; [unrolled: 1-line block ×4, first 2 shown]
	s_mov_b32 s5, 0x1efe73e4
	v_fmaak_f32 v69, v65, v69, 0xaabe943b
	v_fmaak_f32 v68, v65, v68, 0xac88f6b3
	;; [unrolled: 1-line block ×9, first 2 shown]
	s_mov_b32 s5, 0x26fbf950
	v_fmaak_f32 v69, v65, v69, 0x2e471e35
	v_fmaak_f32 v68, v65, v68, 0x308275ad
	;; [unrolled: 1-line block ×4, first 2 shown]
	s_mov_b32 s6, 0xa6a0414f
	v_fmaak_f32 v69, v65, v69, 0x2fd3db98
	v_fmaak_f32 v68, v65, v68, 0xb1ab585e
	;; [unrolled: 1-line block ×38, first 2 shown]
	s_mov_b32 s5, 0x2376df6b
	v_fmaak_f32 v71, v65, v71, 0xa4d12232
	v_fmaak_f32 v81, s5, v65, 0xa5c6c9ae
	s_mov_b32 s5, 0xa688e20b
	v_fmaak_f32 v80, v65, v80, 0xaaa8ec10
	v_fmaak_f32 v83, s5, v65, 0x27f0a4f0
	;; [unrolled: 1-line block ×57, first 2 shown]
.LBB0_24:
	s_or_b32 exec_lo, exec_lo, s4
                                        ; implicit-def: $vgpr65
.LBB0_25:
	s_andn2_saveexec_b32 s4, s15
	s_cbranch_execz .LBB0_27
; %bb.26:
	v_add_f32_e32 v65, 0xc1480000, v65
	s_mov_b32 s5, 0xa440066a
	s_mov_b32 s6, 0xa6038377
	;; [unrolled: 1-line block ×3, first 2 shown]
	v_fmaak_f32 v66, s5, v65, 0x264fc70a
	s_mov_b32 s5, 0xa8ca1751
	v_fmaak_f32 v67, s6, v65, 0x27e128b1
	v_fmaak_f32 v68, s5, v65, 0x295b6d37
	s_mov_b32 s6, 0xa7e77227
	v_fmaak_f32 v69, s7, v65, 0x28c0afef
	;; [unrolled: 3-line block ×3, first 2 shown]
	v_fmaak_f32 v71, s5, v65, 0x221f8da1
	v_fmaak_f32 v69, v65, v69, 0x2b5dec6d
	;; [unrolled: 1-line block ×3, first 2 shown]
	s_mov_b32 s5, 0x22395373
	v_fmaak_f32 v68, v65, v68, 0xac564a67
	v_fmaak_f32 v81, s5, v65, 0xa44718f2
	;; [unrolled: 1-line block ×6, first 2 shown]
	s_mov_b32 s5, 0x25cf89a3
	v_fmaak_f32 v69, v65, v69, 0xae7fb4f7
	v_fmaak_f32 v70, v65, v70, 0xaef35824
	;; [unrolled: 1-line block ×4, first 2 shown]
	s_mov_b32 s6, 0xa6980722
	v_fmaak_f32 v69, v65, v69, 0xb0b745ac
	v_fmaak_f32 v70, v65, v70, 0xb2ac79fc
	;; [unrolled: 1-line block ×36, first 2 shown]
	s_mov_b32 s5, 0x2821c54e
	v_fmaak_f32 v82, v65, v82, 0xaf3d39c4
	v_fmaak_f32 v83, s5, v65, 0x29a3683c
	v_fmaak_f32 v80, v65, v80, 0xa8371f1b
	v_fmaak_f32 v81, v65, v81, 0x29dff2d1
	v_fmaak_f32 v71, v65, v71, 0xaedb3ddb
	v_fmaak_f32 v66, v65, v66, 0x2dca6e78
	v_fmaak_f32 v83, v65, v83, 0x2983c391
	v_fmaak_f32 v80, v65, v80, 0x2a27e7db
	v_fmaak_f32 v81, v65, v81, 0xabf62839
	v_fmaak_f32 v67, v65, v67, 0x2ed24191
	v_fmaak_f32 v82, v65, v82, 0x3172ce11
	v_fmaak_f32 v83, v65, v83, 0xae3a38e8
	v_fmaak_f32 v80, v65, v80, 0xac1168b6
	v_fmaak_f32 v81, v65, v81, 0x2df3852b
	v_fmaak_f32 v71, v65, v71, 0x307133cd
	v_fmaak_f32 v66, v65, v66, 0xb08e0442
	v_fmaak_f32 v83, v65, v83, 0x2fd70992
	v_fmaak_f32 v80, v65, v80, 0x2debb2ef
	v_fmaak_f32 v81, v65, v81, 0xafe0adcd
	v_fmaak_f32 v67, v65, v67, 0xb227e55f
	v_fmaak_f32 v82, v65, v82, 0xb38934d8
	v_fmaak_f32 v83, v65, v83, 0xb225cd51
	v_fmaak_f32 v80, v65, v80, 0xafb1bf9e
	v_fmaak_f32 v81, v65, v81, 0x31cf9908
	v_fmaak_f32 v71, v65, v71, 0xb1eb3ef8
	v_fmaak_f32 v66, v65, v66, 0x332bb408
	v_fmaak_f32 v67, v65, v67, 0x34e3a6cb
	v_fmaak_f32 v80, v65, v80, 0x3179f2d2
	v_fmaak_f32 v81, v65, v81, 0xb3b0da99
	v_fmaak_f32 v83, v65, v83, 0x34b7b742
	v_fmaak_f32 v82, v65, v82, 0x358c6c6b
	v_fmaak_f32 v71, v65, v71, 0x33477c03
	v_fmaak_f32 v80, v65, v80, 0xb3214502
	v_fmaak_f32 v81, v65, v81, 0x35883c6f
	v_fmaak_f32 v66, v65, v66, 0xb57b04d5
	v_fmaak_f32 v67, v65, v67, 0xb72bc5b9
	v_fmaak_f32 v83, v65, v83, 0xb6fc44f3
	v_fmaak_f32 v80, v65, v80, 0x34bb74c5
	v_fmaak_f32 v82, v65, v82, 0xb7913f4b
	v_fmaak_f32 v81, v65, v81, 0xb74a2663
	v_fmaak_f32 v71, v65, v71, 0xb48f4dd4
	v_fmaak_f32 v66, v65, v66, 0x37c824cc
	v_fmaak_f32 v80, v65, v80, 0xb6446660
	v_fmaak_f32 v67, v65, v67, 0x39874286
	v_fmaak_f32 v83, v65, v83, 0x394ba703
	v_fmaak_f32 v82, v65, v82, 0x39872c16
	v_fmaak_f32 v81, v65, v81, 0x39051818
	v_fmaak_f32 v80, v65, v80, 0x37b29fed
	v_fmaak_f32 v71, v65, v71, 0x35a7438b
	v_fmaak_f32 v66, v65, v66, 0xba0c4bab
	v_fmaak_f32 v67, v65, v67, 0xbbb5c6a0
	v_fmaak_f32 v83, v65, v83, 0xbbb0777e
	v_fmaak_f32 v82, v65, v82, 0xbb62e0c1
	v_fmaak_f32 v81, v65, v81, 0xba8a552b
	v_fmaak_f32 v80, v65, v80, 0xb8fa78b6
	v_fmaak_f32 v71, v65, v71, 0xb690935c
	v_fmaak_f32 v66, v65, v66, 0x3c1108c7
	v_fmaak_f32 v67, v65, v67, 0x3db1d10d
	v_fmaak_f32 v84, v65, v83, 0x3e2c2854
	v_fmaak_f32 v83, v65, v82, 0x3d90094e
	v_fmaak_f32 v81, v65, v81, 0x3c3d4e8a
	v_fmaak_f32 v80, v65, v80, 0x3a293868
	v_fmaak_f32 v71, v65, v71, 0x3726d134
.LBB0_27:
	s_or_b32 exec_lo, exec_lo, s4
                                        ; implicit-def: $vgpr65
.LBB0_28:
	s_andn2_saveexec_b32 s4, s14
	s_cbranch_execz .LBB0_30
; %bb.29:
	v_add_f32_e32 v65, 0xc0f00000, v65
	s_mov_b32 s5, 0xa84d0c9c
	s_mov_b32 s6, 0xa7844894
	;; [unrolled: 1-line block ×4, first 2 shown]
	v_fmaak_f32 v66, s6, v65, 0x28665c86
	v_fmaak_f32 v67, s14, v65, 0x28b41034
	v_fmaak_f32 v68, s5, v65, 0x2a55a02a
	v_fmaak_f32 v69, s7, v65, 0xab44044a
	s_mov_b32 s15, 0x21572974
	v_fmaak_f32 v66, v65, v66, 0xabb6767e
	v_fmaak_f32 v67, v65, v67, 0x2c8410e9
	v_fmaak_f32 v68, v65, v68, 0xaca96f2d
	v_fmaak_f32 v69, v65, v69, 0x2ba5a3f3
	s_mov_b32 s5, 0xa348a2a3
	;; [unrolled: 5-line block ×3, first 2 shown]
	v_fmaak_f32 v66, v65, v66, 0x30163233
	v_fmaak_f32 v67, v65, v67, 0xb0a3a1a0
	;; [unrolled: 1-line block ×9, first 2 shown]
	s_mov_b32 s6, 0x26b51f40
	v_fmaak_f32 v66, v65, v66, 0x355c3da2
	v_fmaak_f32 v67, v65, v67, 0x34d4547f
	;; [unrolled: 1-line block ×23, first 2 shown]
	s_mov_b32 s5, 0xa66c9de8
	v_fmaak_f32 v81, v65, v69, 0x25597533
	v_fmaak_f32 v82, v65, v82, 0xacf05408
	;; [unrolled: 1-line block ×7, first 2 shown]
	s_mov_b32 s5, 0x280f4f2a
	v_fmaak_f32 v71, v65, v71, 0x2939e153
	v_fmaak_f32 v83, s5, v65, 0xaa8bf20a
	;; [unrolled: 1-line block ×66, first 2 shown]
.LBB0_30:
	s_or_b32 exec_lo, exec_lo, s4
                                        ; implicit-def: $vgpr65
.LBB0_31:
	s_andn2_saveexec_b32 s4, s13
	s_cbranch_execz .LBB0_33
; %bb.32:
	v_add_f32_e32 v65, 0xc0400000, v65
	s_mov_b32 s6, 0x283c4bc8
	s_mov_b32 s7, 0xa99b4e1a
	;; [unrolled: 1-line block ×4, first 2 shown]
	v_fmaak_f32 v66, s6, v65, 0x29754577
	v_fmaak_f32 v67, s7, v65, 0x2b26a6ba
	;; [unrolled: 1-line block ×3, first 2 shown]
	s_mov_b32 s7, 0xa66b6b05
	s_mov_b32 s5, 0x283b7ae5
	v_fmaak_f32 v66, v65, v66, 0xaca9fa51
	v_fmaak_f32 v67, v65, v67, 0x2da27a98
	;; [unrolled: 1-line block ×3, first 2 shown]
	s_mov_b32 s6, 0x2b4880f0
	v_fmaak_f32 v69, s13, v65, 0xadee3388
	v_fmaak_f32 v66, v65, v66, 0x2ef9f35d
	;; [unrolled: 1-line block ×5, first 2 shown]
	s_mov_b32 s6, 0x2911b091
	v_fmaak_f32 v66, v65, v66, 0xb097c8ac
	v_fmaak_f32 v67, v65, v67, 0xb14dd9f5
	;; [unrolled: 1-line block ×34, first 2 shown]
	s_mov_b32 s5, 0xa91a6110
	v_fmaak_f32 v70, v65, v70, 0xb4a2c3c3
	v_fmaak_f32 v71, v65, v71, 0xaa5112f7
	v_fmaak_f32 v81, s5, v65, 0x2b143093
	v_fmaak_f32 v80, v65, v80, 0x2c19a711
	s_mov_b32 s5, 0x29eaf8e8
	v_fmaak_f32 v82, v65, v82, 0xb655e8e2
	v_fmaak_f32 v71, v65, v71, 0x2c36bc73
	;; [unrolled: 1-line block ×63, first 2 shown]
.LBB0_33:
	s_or_b32 exec_lo, exec_lo, s4
                                        ; implicit-def: $vgpr65
.LBB0_34:
	s_andn2_saveexec_b32 s4, s12
	s_cbranch_execz .LBB0_36
; %bb.35:
	s_mov_b32 s6, 0x2f5455b2
	s_mov_b32 s5, 0xae44739a
	v_fmaak_f32 v67, s6, v65, 0xb19d1daf
	s_mov_b32 s6, 0xb2195195
	v_fmaak_f32 v66, s5, v65, 0x30a78266
	v_fmaak_f32 v69, s6, v65, 0x32984a3e
	s_mov_b32 s5, 0x31a6a427
	s_mov_b32 s7, 0xb32556fa
	v_fmaak_f32 v68, s5, v65, 0x340d3d23
	s_mov_b32 s5, 0xb48574d2
	v_fmaak_f32 v69, v65, v69, 0x364c0fc5
	v_fmaak_f32 v70, s5, v65, 0xb691c9c6
	s_mov_b32 s5, 0x318cbc57
	v_fmaak_f32 v81, s7, v65, 0x35181824
	s_mov_b32 s6, 0x32143c76
	v_fmaak_f32 v69, v65, v69, 0x38dded41
	v_fmaak_f32 v70, v65, v70, 0xb54841fc
	;; [unrolled: 1-line block ×19, first 2 shown]
	s_mov_b32 s5, 0xb221d38a
	v_fmaak_f32 v68, v65, v68, 0xb639ac78
	v_fmaak_f32 v80, s5, v65, 0x341e535e
	s_mov_b32 s5, 0xb10c10db
	v_fmaak_f32 v71, v65, v71, 0x35350544
	v_fmaak_f32 v83, s5, v65, 0x33271f1f
	;; [unrolled: 1-line block ×46, first 2 shown]
.LBB0_36:
	s_or_b32 exec_lo, exec_lo, s4
                                        ; implicit-def: $vgpr65
.LBB0_37:
	s_andn2_saveexec_b32 s4, s11
	s_cbranch_execz .LBB0_39
; %bb.38:
	s_mov_b32 s5, 0xbb0d784d
	s_mov_b32 s6, 0xbcb46f9c
	v_fmaak_f32 v66, s5, v65, 0x3cb9ade5
	v_fmaak_f32 v67, s6, v65, 0x3e6cd27d
	s_mov_b32 s5, 0xbda7392a
	s_mov_b32 s6, 0xbe90feb9
	v_fmaak_f32 v68, s5, v65, 0x3f5b7b07
	v_fmaak_f32 v69, s6, v65, 0x403e4e52
	;; [unrolled: 4-line block ×5, first 2 shown]
.LBB0_39:
	s_or_b32 exec_lo, exec_lo, s4
	buffer_store_dword v66, off, s[0:3], s32
	buffer_store_dword v84, off, s[0:3], s32 offset:32
	buffer_store_dword v67, off, s[0:3], s32 offset:4
	;; [unrolled: 1-line block ×9, first 2 shown]
.LBB0_40:
	s_or_b32 exec_lo, exec_lo, s10
                                        ; implicit-def: $vgpr65
.LBB0_41:
	s_andn2_saveexec_b32 s7, s9
	s_cbranch_execz .LBB0_81
; %bb.42:
	s_mov_b32 s9, exec_lo
	v_cmpx_eq_u32_e32 3, v9
	s_cbranch_execz .LBB0_80
; %bb.43:
	s_mov_b32 s4, exec_lo
                                        ; implicit-def: $vgpr70
                                        ; implicit-def: $vgpr71
                                        ; implicit-def: $vgpr82
                                        ; implicit-def: $vgpr84
                                        ; implicit-def: $vgpr69
                                        ; implicit-def: $vgpr68
                                        ; implicit-def: $vgpr67
                                        ; implicit-def: $vgpr66
	v_cmpx_ge_f32_e32 0x34a10fb0, v65
	s_xor_b32 s4, exec_lo, s4
	s_cbranch_execz .LBB0_45
; %bb.44:
	s_mov_b32 s5, 0xbb863b96
	s_mov_b32 s6, 0xbd37ded9
	v_fmaak_f32 v66, s5, v65, 0x3d0e9f4f
	v_fmaak_f32 v67, s6, v65, 0x3ec35cc6
	s_mov_b32 s5, 0xbe514b60
	s_mov_b32 s6, 0xbfb26435
	v_fmaak_f32 v68, s5, v65, 0x3fde6016
	v_fmaak_f32 v69, s6, v65, 0x413d8a78
	;; [unrolled: 4-line block ×4, first 2 shown]
                                        ; implicit-def: $vgpr65
.LBB0_45:
	s_andn2_saveexec_b32 s10, s4
	s_cbranch_execz .LBB0_79
; %bb.46:
	s_mov_b32 s4, exec_lo
                                        ; implicit-def: $vgpr70
                                        ; implicit-def: $vgpr71
                                        ; implicit-def: $vgpr82
                                        ; implicit-def: $vgpr84
                                        ; implicit-def: $vgpr69
                                        ; implicit-def: $vgpr68
                                        ; implicit-def: $vgpr67
                                        ; implicit-def: $vgpr66
	v_cmpx_ge_f32_e32 1.0, v65
	s_xor_b32 s4, exec_lo, s4
	s_cbranch_execz .LBB0_48
; %bb.47:
	s_mov_b32 s6, 0x30f3a70b
	s_mov_b32 s5, 0xaf56bec5
	v_fmaak_f32 v67, s6, v65, 0x3310894f
	v_fmaak_f32 v66, s5, v65, 0x31b29714
	s_mov_b32 s5, 0xb2a2d38f
	s_mov_b32 s12, 0x31abae9b
	v_fmaak_f32 v68, s5, v65, 0x34a521e7
	v_fmaak_f32 v67, v65, v67, 0xb48ab230
	;; [unrolled: 1-line block ×3, first 2 shown]
	s_mov_b32 s6, 0xb18d7751
	s_mov_b32 s11, 0xb312c10a
	v_fmaak_f32 v68, v65, v68, 0x35aa969a
	v_fmaak_f32 v67, v65, v67, 0xb73eaa1c
	;; [unrolled: 1-line block ×12, first 2 shown]
	s_mov_b32 s5, 0xb244f74c
	v_fmaak_f32 v69, v65, v69, 0x36e8cb38
	v_fmaak_f32 v70, v65, v70, 0x3830502e
	;; [unrolled: 1-line block ×5, first 2 shown]
	s_mov_b32 s6, 0xb371075f
	v_fmaak_f32 v66, v65, v66, 0xb3da8534
	v_fmaak_f32 v67, v65, v68, 0x3ec35cc6
	;; [unrolled: 1-line block ×39, first 2 shown]
                                        ; implicit-def: $vgpr65
.LBB0_48:
	s_andn2_saveexec_b32 s11, s4
	s_cbranch_execz .LBB0_78
; %bb.49:
	s_mov_b32 s4, exec_lo
                                        ; implicit-def: $vgpr70
                                        ; implicit-def: $vgpr71
                                        ; implicit-def: $vgpr82
                                        ; implicit-def: $vgpr84
                                        ; implicit-def: $vgpr69
                                        ; implicit-def: $vgpr68
                                        ; implicit-def: $vgpr67
                                        ; implicit-def: $vgpr66
	v_cmpx_ge_f32_e32 0x40a00000, v65
	s_xor_b32 s4, exec_lo, s4
	s_cbranch_execz .LBB0_51
; %bb.50:
	v_add_f32_e32 v65, 0xc0400000, v65
	s_mov_b32 s14, 0xa68c7d15
	s_mov_b32 s13, 0x28235b54
	;; [unrolled: 1-line block ×4, first 2 shown]
	v_fmaak_f32 v80, s14, v65, 0x288e2f5e
	v_fmaak_f32 v71, s13, v65, 0xaa1e3c47
	;; [unrolled: 1-line block ×3, first 2 shown]
	s_mov_b32 s12, 0xa883d0e0
	v_fmaak_f32 v67, s6, v65, 0xac21b027
	v_fmaak_f32 v80, v65, v80, 0xaa7d53a8
	v_fmaak_f32 v70, s12, v65, 0x2a7e0d84
	v_fmaak_f32 v71, v65, v71, 0x2c070e7f
	s_mov_b32 s6, 0xa951c74e
	s_mov_b32 s5, 0xa6d61ce4
	v_fmaak_f32 v80, v65, v80, 0x2c5f4f4a
	v_fmaak_f32 v70, v65, v70, 0xac5b4987
	;; [unrolled: 1-line block ×8, first 2 shown]
	s_mov_b32 s5, 0xab98b6fb
	v_fmaak_f32 v69, v65, v69, 0xad50b625
	v_fmaak_f32 v80, v65, v80, 0x300a0690
	v_fmaak_f32 v81, s5, v65, 0x2e8d10d0
	v_fmaak_f32 v70, v65, v70, 0xb01bf217
	v_fmaak_f32 v71, v65, v71, 0xb184c012
	v_fmaak_f32 v66, v65, v66, 0x2c8f262f
	v_fmaak_f32 v80, v65, v80, 0xb1be86c1
	v_fmaak_f32 v67, v65, v67, 0xac867503
	v_fmaak_f32 v68, v65, v68, 0xaf22fa6a
	v_fmaak_f32 v81, v65, v81, 0x304f52d5
	v_fmaak_f32 v69, v65, v69, 0x2f4cc410
	v_fmaak_f32 v70, v65, v70, 0x31f0bc08
	v_fmaak_f32 v71, v65, v71, 0x3332c8ea
	v_fmaak_f32 v80, v65, v80, 0x336e8c7e
	v_fmaak_f32 v66, v65, v66, 0xaec98007
	v_fmaak_f32 v67, v65, v67, 0x303c235b
	v_fmaak_f32 v68, v65, v68, 0xb113fe48
	v_fmaak_f32 v81, v65, v81, 0xb118157a
	v_fmaak_f32 v69, v65, v69, 0xb1405f8e
	v_fmaak_f32 v70, v65, v70, 0xb3ae6133
	v_fmaak_f32 v71, v65, v71, 0xb4dbd425
	v_fmaak_f32 v80, v65, v80, 0xb505f65e
	v_fmaak_f32 v66, v65, v66, 0x310ca805
	v_fmaak_f32 v67, v65, v67, 0xb2340e50
	v_fmaak_f32 v68, v65, v68, 0x331cf11f
	v_fmaak_f32 v81, v65, v81, 0xb41b809d
	v_fmaak_f32 v69, v65, v69, 0x33323270
	v_fmaak_f32 v70, v65, v70, 0x356b8f5e
	v_fmaak_f32 v71, v65, v71, 0x367449f8
	v_fmaak_f32 v80, v65, v80, 0x36851802
	v_fmaak_f32 v66, v65, v66, 0xb32d1eb9
	v_fmaak_f32 v67, v65, v67, 0x3280eba4
	v_fmaak_f32 v68, v65, v68, 0x350a7e69
	v_fmaak_f32 v81, v65, v81, 0xb6034ffe
	v_fmaak_f32 v69, v65, v69, 0xb51f472b
	v_fmaak_f32 v70, v65, v70, 0xb713467b
	v_fmaak_f32 v71, v65, v71, 0xb7f2265f
	v_fmaak_f32 v80, v65, v80, 0xb7e5b1a1
	v_fmaak_f32 v66, v65, v66, 0x3543cc7f
	v_fmaak_f32 v67, v65, v67, 0x366a1bcb
	v_fmaak_f32 v68, v65, v68, 0xb71fc8c5
	v_fmaak_f32 v81, v65, v81, 0xb73452e0
	v_fmaak_f32 v69, v65, v69, 0x37090acb
	v_fmaak_f32 v70, v65, v70, 0x38a8b067
	v_fmaak_f32 v71, v65, v71, 0x3952418e
	v_fmaak_f32 v80, v65, v80, 0x3927e264
	v_fmaak_f32 v66, v65, v66, 0xb74e8ece
	v_fmaak_f32 v67, v65, v67, 0xb8e3f2be
	v_fmaak_f32 v68, v65, v68, 0xb963125a
	v_fmaak_f32 v81, v65, v81, 0x391c9710
	v_fmaak_f32 v69, v65, v69, 0xb8e4911e
	v_fmaak_f32 v70, v65, v70, 0xba2e1a4d
	v_fmaak_f32 v71, v65, v71, 0xba9bb3f2
	v_fmaak_f32 v80, v65, v80, 0xba486ccb
	v_fmaak_f32 v66, v65, v66, 0x3945f7b2
	v_fmaak_f32 v67, v65, v67, 0x3b0858d0
	v_fmaak_f32 v68, v65, v68, 0x3c1409b2
	v_fmaak_f32 v81, v65, v81, 0x3d47cca6
	v_fmaak_f32 v69, v65, v69, 0x3ab947dc
	v_fmaak_f32 v70, v65, v70, 0x3b9dac6e
	v_fmaak_f32 v71, v65, v71, 0x3bbc7d41
	v_fmaak_f32 v80, v65, v80, 0x3b385f59
	v_fmaak_f32 v66, v65, v66, 0xbb25fa77
	v_fmaak_f32 v67, v65, v67, 0xbcee8e49
	v_fmaak_f32 v68, v65, v68, 0xbe14ff63
	v_fmaak_f32 v81, v65, v81, 0xbf8d8445
	v_fmaak_f32 v82, v65, v69, 0xbc99ac21
	v_fmaak_f32 v70, v65, v70, 0xbcecbc0f
	v_fmaak_f32 v71, v65, v71, 0xbcab8a73
	v_fmaak_f32 v80, v65, v80, 0xbbeab17a
	v_fmaak_f32 v66, v65, v66, 0x3ccdc817
	v_fmaak_f32 v67, v65, v67, 0x3e8b67d3
	v_fmaak_f32 v68, v65, v68, 0x3f9b7470
	v_fmaak_f32 v69, v65, v81, 0x41018534
	v_fmaak_f32 v84, v65, v82, 0x3e946d99
	v_fmaak_f32 v82, v65, v70, 0x3e1fff47
	v_fmaak_f32 v71, v65, v71, 0x3d46ce9d
	v_fmaak_f32 v70, v65, v80, 0x3c1e4838
                                        ; implicit-def: $vgpr65
.LBB0_51:
	s_andn2_saveexec_b32 s12, s4
	s_cbranch_execz .LBB0_77
; %bb.52:
	s_mov_b32 s4, exec_lo
                                        ; implicit-def: $vgpr70
                                        ; implicit-def: $vgpr71
                                        ; implicit-def: $vgpr82
                                        ; implicit-def: $vgpr84
                                        ; implicit-def: $vgpr69
                                        ; implicit-def: $vgpr68
                                        ; implicit-def: $vgpr67
                                        ; implicit-def: $vgpr66
	v_cmpx_ge_f32_e32 0x41200000, v65
	s_xor_b32 s4, exec_lo, s4
	s_cbranch_execz .LBB0_54
; %bb.53:
	v_add_f32_e32 v65, 0xc0f00000, v65
	s_mov_b32 s6, 0x290465b7
	s_mov_b32 s5, 0x27a7407e
	;; [unrolled: 1-line block ×4, first 2 shown]
	v_fmaak_f32 v68, s6, v65, 0x2b6e9696
	s_mov_b32 s6, 0xa38f9ef6
	v_fmaak_f32 v67, s5, v65, 0xa7e238da
	v_fmaak_f32 v81, s6, v65, 0x25944318
	s_mov_b32 s5, 0x253def64
	v_fmaak_f32 v71, s15, v65, 0x27e16f6a
	v_fmaak_f32 v80, s5, v65, 0xa7417bc5
	v_fmaak_f32 v69, s14, v65, 0x2b58703b
	v_fmaak_f32 v81, v65, v81, 0xa782a98b
	s_mov_b32 s13, 0x290430f6
	v_fmaak_f32 v71, v65, v71, 0xa9d97501
	v_fmaak_f32 v80, v65, v80, 0x292aa2ef
	;; [unrolled: 5-line block ×3, first 2 shown]
	v_fmaak_f32 v70, s13, v65, 0x299bc9cd
	v_fmaak_f32 v81, v65, v81, 0xab46ebdc
	;; [unrolled: 1-line block ×83, first 2 shown]
                                        ; implicit-def: $vgpr65
.LBB0_54:
	s_andn2_saveexec_b32 s13, s4
	s_cbranch_execz .LBB0_76
; %bb.55:
                                        ; implicit-def: $vgpr70
                                        ; implicit-def: $vgpr71
                                        ; implicit-def: $vgpr82
                                        ; implicit-def: $vgpr84
                                        ; implicit-def: $vgpr69
                                        ; implicit-def: $vgpr68
                                        ; implicit-def: $vgpr67
                                        ; implicit-def: $vgpr66
	s_mov_b32 s4, exec_lo
	v_cmpx_ge_f32_e32 0x41700000, v65
	s_xor_b32 s5, exec_lo, s4
	s_cbranch_execz .LBB0_57
; %bb.56:
	v_div_scale_f32 v66, null, v65, v65, 0xbe405aee
	v_div_scale_f32 v69, vcc_lo, 0xbe405aee, v65, 0xbe405aee
	v_mul_f32_e32 v81, 0xbfb8aa3b, v65
	v_rcp_f32_e32 v67, v66
	v_div_scale_f32 v82, s4, 0x3f490fdb, v65, 0x3f490fdb
	s_mov_b32 s17, 0x22564758
	v_rndne_f32_e32 v86, v81
	v_fma_f32 v87, 0xbfb8aa3b, v65, -v81
	s_mov_b32 s6, 0x246437e5
	s_mov_b32 s18, 0xa4417dfb
	;; [unrolled: 1-line block ×3, first 2 shown]
	v_sub_f32_e32 v81, v81, v86
	v_fma_f32 v68, -v66, v67, 1.0
	v_fmamk_f32 v87, v65, 0xb2a5705f, v87
	s_mov_b32 s16, 0x2950b415
	s_mov_b32 s19, 0xa7e03286
	;; [unrolled: 1-line block ×3, first 2 shown]
	v_fmac_f32_e32 v67, v68, v67
	v_add_f32_e32 v81, v81, v87
	v_cvt_i32_f32_e32 v86, v86
	v_mul_f32_e32 v68, v69, v67
	v_exp_f32_e32 v81, v81
	v_fma_f32 v70, -v66, v68, v69
	v_fmac_f32_e32 v68, v70, v67
	v_ldexp_f32 v81, v81, v86
	v_fma_f32 v66, -v66, v68, v69
	v_div_fmas_f32 v66, v66, v67, v68
	v_div_fixup_f32 v66, v66, v65, 0xbe405aee
	v_add_f32_e32 v66, 0x3e6b6fc1, v66
	v_div_scale_f32 v67, null, v65, v65, v66
	v_div_scale_f32 v70, vcc_lo, v66, v65, v66
	v_rcp_f32_e32 v68, v67
	v_fma_f32 v69, -v67, v68, 1.0
	v_fmac_f32_e32 v68, v69, v68
	v_add_f32_e32 v69, 0xc1480000, v65
	v_mul_f32_e32 v71, v70, v68
	v_fmaak_f32 v84, s17, v69, 0xa455b366
	v_fmaak_f32 v85, s18, v69, 0x262b4edc
	;; [unrolled: 1-line block ×3, first 2 shown]
	v_fma_f32 v80, -v67, v71, v70
	v_fmaak_f32 v84, v69, v84, 0x2634d615
	v_fmaak_f32 v85, v69, v85, 0xa84ef2f0
	;; [unrolled: 1-line block ×3, first 2 shown]
	v_fmac_f32_e32 v71, v80, v68
	v_div_scale_f32 v80, null, v65, v65, 0x3f490fdb
	v_fmaak_f32 v84, v69, v84, 0xa820fa09
	v_fmaak_f32 v85, v69, v85, 0x2a53d0e5
	v_fma_f32 v67, -v67, v71, v70
	v_rcp_f32_e32 v96, v80
	v_fmaak_f32 v70, s6, v69, 0x26679cea
	v_fmaak_f32 v84, v69, v84, 0x2a06836f
	;; [unrolled: 1-line block ×3, first 2 shown]
	v_div_fmas_f32 v67, v67, v68, v71
	v_fmaak_f32 v71, s16, v69, 0xa954e934
	v_fmaak_f32 v70, v69, v70, 0xa7c9bad2
	v_fmaak_f32 v84, v69, v84, 0xabccc660
	v_fmaak_f32 v68, s15, v69, 0x29fcf12e
	v_div_fixup_f32 v66, v67, v65, v66
	v_fma_f32 v87, -v80, v96, 1.0
	v_fmaak_f32 v70, v69, v70, 0xaa1b39e8
	v_fmaak_f32 v84, v69, v84, 0x2d9055f8
	;; [unrolled: 1-line block ×3, first 2 shown]
	v_add_f32_e32 v66, 0xbeff74bd, v66
	v_fmac_f32_e32 v96, v87, v96
	v_fmaak_f32 v70, v69, v70, 0x2b45373d
	v_fmaak_f32 v84, v69, v84, 0xaf3d1a3f
	;; [unrolled: 1-line block ×3, first 2 shown]
	v_div_scale_f32 v97, null, v65, v65, v66
	v_div_scale_f32 v100, vcc_lo, v66, v65, v66
	v_fmaak_f32 v70, v69, v70, 0x2d656312
	v_rcp_f32_e32 v98, v97
	v_fmaak_f32 v84, v69, v84, 0x30e10a54
	v_fmaak_f32 v67, v69, v67, 0xab4098d2
	;; [unrolled: 1-line block ×9, first 2 shown]
	v_fma_f32 v99, -v97, v98, 1.0
	v_fmaak_f32 v84, v69, v84, 0x33e4c403
	v_fmaak_f32 v67, v69, v67, 0x2d8ab352
	;; [unrolled: 1-line block ×4, first 2 shown]
	v_fmac_f32_e32 v98, v99, v98
	v_mul_f32_e32 v99, v82, v96
	v_fmaak_f32 v84, v69, v84, 0xb54352b2
	v_fmaak_f32 v68, v69, v68, 0xae524e41
	v_fmaak_f32 v70, v69, v70, 0xb5d8c750
	v_mul_f32_e32 v87, v100, v98
	v_fma_f32 v102, -v80, v99, v82
	v_fmaak_f32 v83, v69, v83, 0x2c8993c3
	v_fmaak_f32 v71, v69, v71, 0x30d8bcf1
	;; [unrolled: 1-line block ×3, first 2 shown]
	v_fma_f32 v101, -v97, v87, v100
	v_fmac_f32_e32 v99, v102, v96
	v_fmaak_f32 v67, v69, v67, 0xafe71d52
	v_fmaak_f32 v85, v69, v85, 0x31d229b4
	;; [unrolled: 1-line block ×3, first 2 shown]
	v_fmac_f32_e32 v87, v101, v98
	v_fma_f32 v80, -v80, v99, v82
	v_fmaak_f32 v83, v69, v83, 0x2f51b0c7
	v_fmaak_f32 v71, v69, v71, 0xb2acd15c
	;; [unrolled: 1-line block ×3, first 2 shown]
	v_fma_f32 v97, -v97, v87, v100
	v_fmaak_f32 v85, v69, v85, 0xb38fdfc1
	v_fmaak_f32 v68, v69, v68, 0x2ff756a0
	v_fmaak_f32 v83, v69, v83, 0x307178d8
	v_fmaak_f32 v71, v69, v71, 0xb4462346
	v_div_fmas_f32 v82, v97, v98, v87
	s_mov_b32 vcc_lo, s4
	v_fmaak_f32 v85, v69, v85, 0x3549f72a
	v_div_fmas_f32 v80, v80, v96, v99
	v_fmaak_f32 v99, v69, v70, 0xba4e881f
	v_fmaak_f32 v70, v69, v84, 0x368a4c39
	v_fmaak_f32 v67, v69, v67, 0xb3b26518
	v_div_fixup_f32 v66, v82, v65, v66
	v_div_fixup_f32 v80, v80, v65, 0x3f490fdb
	v_fmaak_f32 v68, v69, v68, 0xb487446d
	v_fmaak_f32 v83, v69, v83, 0xb38046bb
	v_fmaak_f32 v71, v69, v71, 0x36a88e15
	v_fmaak_f32 v85, v69, v85, 0xb707adc3
	v_mul_f32_e32 v87, 0x4f800000, v80
	v_cmp_gt_f32_e32 vcc_lo, 0xf800000, v80
	v_fmaak_f32 v67, v69, v67, 0x35b6103b
	v_fmaak_f32 v68, v69, v68, 0x36a703eb
	;; [unrolled: 1-line block ×4, first 2 shown]
	v_cndmask_b32_e32 v80, v80, v87, vcc_lo
	v_fmaak_f32 v70, v69, v70, 0xb7928169
	v_fmaak_f32 v85, v69, v85, 0x3890691d
	;; [unrolled: 1-line block ×3, first 2 shown]
	v_add_f32_e32 v66, 0xb7b7d95a, v66
	v_sqrt_f32_e32 v87, v80
	v_fmaak_f32 v68, v69, v68, 0xb903f8d8
	v_fmaak_f32 v83, v69, v83, 0xb7a9c0f3
	;; [unrolled: 1-line block ×6, first 2 shown]
	v_add_nc_u32_e32 v96, -1, v87
	v_add_nc_u32_e32 v97, 1, v87
	v_fmaak_f32 v67, v69, v67, 0xbb40fe3a
	v_fma_f32 v98, -v96, v87, v80
	v_fma_f32 v84, -v97, v87, v80
	v_cmp_ge_f32_e64 s4, 0, v98
	v_cndmask_b32_e64 v87, v87, v96, s4
	v_cmp_lt_f32_e64 s4, 0, v84
	v_cndmask_b32_e64 v84, v87, v97, s4
	v_cmp_nlt_f32_e64 s4, 0x42ce8ed0, v65
	v_mul_f32_e32 v86, 0x37800000, v84
	v_cndmask_b32_e64 v81, 0, v81, s4
	v_cndmask_b32_e32 v82, v84, v86, vcc_lo
	v_cmp_ngt_f32_e32 vcc_lo, 0xc2b17218, v65
	v_cndmask_b32_e32 v65, 0x7f800000, v81, vcc_lo
	v_cmp_class_f32_e64 vcc_lo, v80, 0x260
	v_fmaak_f32 v81, v69, v85, 0xb9f4e0b0
	v_cndmask_b32_e32 v80, v82, v80, vcc_lo
	v_fmaak_f32 v82, v69, v67, 0x3d7654f6
	v_fmac_f32_e32 v80, v65, v66
	v_fmaak_f32 v65, v69, v68, 0x3b312152
	v_fmaak_f32 v66, v69, v71, 0x3ce5d16f
	;; [unrolled: 1-line block ×3, first 2 shown]
	v_sub_f32_e32 v68, v80, v70
	v_fmaak_f32 v80, v69, v83, 0xbc0e48f3
	v_fmaak_f32 v65, v69, v65, 0xbd23908f
	;; [unrolled: 1-line block ×4, first 2 shown]
	v_sub_f32_e32 v83, v68, v71
	v_fmaak_f32 v67, v69, v80, 0x3ded362a
	v_fmaak_f32 v68, v69, v65, 0x3eddef6a
	;; [unrolled: 1-line block ×3, first 2 shown]
                                        ; implicit-def: $vgpr65
	v_sub_f32_e32 v84, v83, v82
.LBB0_57:
	s_andn2_saveexec_b32 s14, s5
	s_cbranch_execz .LBB0_75
; %bb.58:
                                        ; implicit-def: $vgpr70
                                        ; implicit-def: $vgpr71
                                        ; implicit-def: $vgpr82
                                        ; implicit-def: $vgpr84
                                        ; implicit-def: $vgpr69
                                        ; implicit-def: $vgpr68
                                        ; implicit-def: $vgpr67
                                        ; implicit-def: $vgpr66
	s_mov_b32 s4, exec_lo
	v_cmpx_ge_f32_e32 0x41a00000, v65
	s_xor_b32 s6, exec_lo, s4
	s_cbranch_execz .LBB0_60
; %bb.59:
	v_div_scale_f32 v66, null, v65, v65, 0x3f490fdb
	v_div_scale_f32 v67, vcc_lo, 0x3f490fdb, v65, 0x3f490fdb
	v_add_f32_e32 v69, 0xc18c0000, v65
	v_rcp_f32_e32 v68, v66
	v_div_scale_f32 v70, null, v65, v65, 0x3e48f136
	s_mov_b32 s19, 0xa47fb206
	s_mov_b32 s5, 0x244964a5
	v_fmaak_f32 v85, s19, v69, 0x259aec42
	v_rcp_f32_e32 v96, v70
	v_fmaak_f32 v81, s5, v69, 0xa5021e92
	s_mov_b32 s17, 0xa7c3e343
	s_mov_b32 s18, 0xa15f6467
	v_fma_f32 v71, -v66, v68, 1.0
	v_fmaak_f32 v85, v69, v85, 0x28730492
	v_fmaak_f32 v81, v69, v81, 0xa7dd9259
	s_mov_b32 s20, 0xa55706df
	v_div_scale_f32 v80, s4, 0x3e48f136, v65, 0x3e48f136
	v_fmac_f32_e32 v68, v71, v68
	v_fmaak_f32 v83, s17, v69, 0xa9fd4a43
	v_fmaak_f32 v84, s18, v69, 0x230b0101
	v_fmaak_f32 v87, s20, v69, 0x26a8205b
	v_fmaak_f32 v81, v69, v81, 0x29830f5a
	v_mul_f32_e32 v86, v67, v68
	v_fmaak_f32 v83, v69, v83, 0x2c46e7a4
	v_fmaak_f32 v84, v69, v84, 0xa5056e00
	;; [unrolled: 1-line block ×4, first 2 shown]
	v_fma_f32 v97, -v66, v86, v67
	s_mov_b32 s15, 0x260fcd4b
	s_mov_b32 s16, 0x2709fd34
	v_fmaak_f32 v82, s15, v69, 0xa5964d55
	v_fmaak_f32 v81, v69, v81, 0xad5ab96b
	v_fmac_f32_e32 v86, v97, v68
	v_fmaak_f32 v71, s16, v69, 0x28861042
	v_fmaak_f32 v82, v69, v82, 0xa9af14ba
	;; [unrolled: 1-line block ×3, first 2 shown]
	v_fma_f32 v66, -v66, v86, v67
	v_fmaak_f32 v67, v69, v83, 0xad5ed8a6
	v_fmaak_f32 v83, v69, v84, 0x272dbeb2
	;; [unrolled: 1-line block ×4, first 2 shown]
	v_div_fmas_f32 v66, v66, v68, v86
	v_fmaak_f32 v68, v69, v85, 0xaa8d2834
	v_fma_f32 v85, -v70, v96, 1.0
	s_mov_b32 vcc_lo, s4
	v_fmaak_f32 v82, v69, v82, 0x2ce25495
	v_div_fixup_f32 v66, v66, v65, 0x3f490fdb
	v_fmaak_f32 v83, v69, v83, 0xa92235dd
	v_fmac_f32_e32 v96, v85, v96
	v_fmaak_f32 v84, v69, v84, 0x2bf86dd2
	v_fmaak_f32 v82, v69, v82, 0xaf1975f0
	v_mul_f32_e32 v85, 0x4f800000, v66
	v_cmp_gt_f32_e64 s5, 0xf800000, v66
	v_mul_f32_e32 v86, v80, v96
	v_fmaak_f32 v83, v69, v83, 0x2ae5cdfe
	v_fmaak_f32 v82, v69, v82, 0x3023ad2c
	;; [unrolled: 1-line block ×3, first 2 shown]
	v_cndmask_b32_e64 v66, v66, v85, s5
	v_fma_f32 v85, -v70, v86, v80
	v_fmaak_f32 v68, v69, v68, 0x2c08d21c
	v_fmaak_f32 v82, v69, v82, 0x3126a007
	;; [unrolled: 1-line block ×3, first 2 shown]
	v_sqrt_f32_e32 v87, v66
	v_fmac_f32_e32 v86, v85, v96
	v_fmaak_f32 v71, v69, v71, 0x2ba6fc04
	v_fmaak_f32 v82, v69, v82, 0x3484de2d
	;; [unrolled: 1-line block ×4, first 2 shown]
	v_fma_f32 v70, -v70, v86, v80
	v_fmaak_f32 v80, v69, v81, 0x2f8610fa
	v_fmaak_f32 v82, v69, v82, 0xb74073be
	v_fmaak_f32 v71, v69, v71, 0x2e4b015d
	v_add_nc_u32_e32 v81, -1, v87
	v_div_fmas_f32 v70, v70, v96, v86
	v_add_nc_u32_e32 v85, 1, v87
	v_fmaak_f32 v67, v69, v67, 0xafea2032
	v_fmaak_f32 v68, v69, v68, 0x2fc066fe
	v_fma_f32 v86, -v81, v87, v66
	v_div_fixup_f32 v70, v70, v65, 0x3e48f136
	v_fma_f32 v96, -v85, v87, v66
	v_fmaak_f32 v84, v69, v84, 0xb2b6136a
	v_fmaak_f32 v71, v69, v71, 0xb0185ff0
	v_cmp_ge_f32_e32 vcc_lo, 0, v86
	v_add_f32_e32 v70, 0xbefe708c, v70
	v_fmaak_f32 v67, v69, v67, 0x32226ef1
	v_fmaak_f32 v68, v69, v68, 0xb214fef8
	;; [unrolled: 1-line block ×3, first 2 shown]
	v_cndmask_b32_e32 v81, v87, v81, vcc_lo
	v_cmp_lt_f32_e32 vcc_lo, 0, v96
	v_fmaak_f32 v71, v69, v71, 0x2fbfbfd3
	v_fmaak_f32 v67, v69, v67, 0xb37bf545
	;; [unrolled: 1-line block ×4, first 2 shown]
	v_cndmask_b32_e32 v81, v81, v85, vcc_lo
	v_div_scale_f32 v85, null, v65, v65, v70
	v_cmp_class_f32_e64 vcc_lo, v66, 0x260
	v_fmaak_f32 v71, v69, v71, 0xb13fdb72
	v_mul_f32_e32 v86, 0x37800000, v81
	v_rcp_f32_e32 v87, v85
	v_fmaak_f32 v67, v69, v67, 0xb5aceb61
	v_fmaak_f32 v68, v69, v68, 0xb5b798ef
	;; [unrolled: 1-line block ×3, first 2 shown]
	v_cndmask_b32_e64 v81, v81, v86, s5
	v_fmaak_f32 v86, v69, v82, 0x398e36e3
	v_fmaak_f32 v82, v69, v83, 0xac96ecc5
	v_mul_f32_e32 v83, 0xbfb8aa3b, v65
	v_fmaak_f32 v80, v69, v80, 0x328feebe
	v_cndmask_b32_e32 v66, v81, v66, vcc_lo
	v_fma_f32 v81, -v85, v87, 1.0
	v_fmaak_f32 v82, v69, v82, 0x2e5fb89c
	v_rndne_f32_e32 v96, v83
	v_fma_f32 v97, 0xbfb8aa3b, v65, -v83
	v_fmaak_f32 v71, v69, v71, 0x360ca2af
	v_fmac_f32_e32 v87, v81, v87
	v_div_scale_f32 v81, vcc_lo, v70, v65, v70
	v_sub_f32_e32 v83, v83, v96
	v_fmamk_f32 v97, v65, 0xb2a5705f, v97
	v_fmaak_f32 v82, v69, v82, 0xb02eaacd
	v_mul_f32_e32 v98, v81, v87
	v_fmaak_f32 v67, v69, v67, 0x38392473
	v_fmaak_f32 v68, v69, v68, 0x3748009b
	v_add_f32_e32 v83, v83, v97
	v_fmaak_f32 v82, v69, v82, 0x31ea7090
	v_fma_f32 v99, -v85, v98, v81
	v_fmaak_f32 v80, v69, v80, 0xb57a6150
	v_fmaak_f32 v71, v69, v71, 0xb88de000
	v_exp_f32_e32 v83, v83
	v_fmaak_f32 v82, v69, v82, 0xb371f7b0
	v_fmac_f32_e32 v98, v99, v87
	v_fmaak_f32 v67, v69, v67, 0xba47af66
	v_fmaak_f32 v68, v69, v68, 0xb91516ad
	;; [unrolled: 1-line block ×3, first 2 shown]
	v_fma_f32 v81, -v85, v98, v81
	v_cvt_i32_f32_e32 v85, v96
	v_fmaak_f32 v67, v69, v67, 0x3c1e48ca
	v_fmaak_f32 v80, v69, v80, 0xb9f5b4e6
	v_div_fmas_f32 v81, v81, v87, v98
	v_ldexp_f32 v83, v83, v85
	v_cmp_nlt_f32_e32 vcc_lo, 0x42ce8ed0, v65
	v_div_fixup_f32 v70, v81, v65, v70
	v_cndmask_b32_e32 v81, 0, v83, vcc_lo
	v_cmp_ngt_f32_e32 vcc_lo, 0xc2b17218, v65
	v_fmaak_f32 v83, v69, v84, 0xbac24051
	v_add_f32_e32 v70, 0xb87c50a3, v70
	v_cndmask_b32_e32 v65, 0x7f800000, v81, vcc_lo
	v_fmaak_f32 v81, v69, v82, 0x34bfaa71
	v_fmaak_f32 v82, v69, v83, 0x3d4be9ee
	v_fmac_f32_e32 v66, v65, v70
	v_fmaak_f32 v65, v69, v71, 0x3aad2f6d
	v_fmaak_f32 v70, v69, v81, 0xb6211849
	;; [unrolled: 1-line block ×4, first 2 shown]
	v_sub_f32_e32 v66, v66, v82
	v_fmaak_f32 v65, v69, v65, 0xbca7fca6
	v_fmaak_f32 v81, v69, v67, 0xbdcfb058
	;; [unrolled: 1-line block ×4, first 2 shown]
	v_sub_f32_e32 v83, v66, v71
	v_fmaak_f32 v66, v69, v80, 0x3c08cd82
	v_fmaak_f32 v68, v69, v65, 0x3e937dbd
	;; [unrolled: 1-line block ×3, first 2 shown]
                                        ; implicit-def: $vgpr65
	v_sub_f32_e32 v84, v83, v70
.LBB0_60:
	s_andn2_saveexec_b32 s15, s6
	s_cbranch_execz .LBB0_74
; %bb.61:
                                        ; implicit-def: $vgpr70
                                        ; implicit-def: $vgpr71
                                        ; implicit-def: $vgpr82
                                        ; implicit-def: $vgpr84
                                        ; implicit-def: $vgpr69
                                        ; implicit-def: $vgpr68
                                        ; implicit-def: $vgpr67
                                        ; implicit-def: $vgpr66
	s_mov_b32 s4, exec_lo
	v_cmpx_ge_f32_e32 0x420c0000, v65
	s_xor_b32 s5, exec_lo, s4
	s_cbranch_execz .LBB0_67
; %bb.62:
	s_mov_b32 s4, exec_lo
                                        ; implicit-def: $vgpr70
	v_cmpx_ge_f32_e32 0x41c80000, v65
	s_xor_b32 s4, exec_lo, s4
	s_cbranch_execz .LBB0_64
; %bb.63:
	v_div_scale_f32 v66, null, v65, v65, 0x4681b030
	s_mov_b32 s6, 0x347b012a
	v_fmaak_f32 v69, s6, v65, 0xb82007dc
	v_rcp_f32_e32 v67, v66
	v_fmaak_f32 v69, v65, v69, 0x3b664dec
	v_fmaak_f32 v69, v65, v69, 0xbe2a8916
	v_fma_f32 v68, -v66, v67, 1.0
	v_fmaak_f32 v69, v65, v69, 0x40999a1a
	v_fmac_f32_e32 v67, v68, v67
	v_div_scale_f32 v68, vcc_lo, 0x4681b030, v65, 0x4681b030
	v_mul_f32_e32 v70, v68, v67
	v_fma_f32 v71, -v66, v70, v68
	v_fmac_f32_e32 v70, v71, v67
	v_fma_f32 v66, -v66, v70, v68
	v_fmaak_f32 v68, v65, v69, 0xc2aea219
	v_div_fmas_f32 v66, v66, v67, v70
	v_fmaak_f32 v67, v65, v68, 0x44746bc1
	v_div_fixup_f32 v66, v66, v65, 0x4681b030
	v_fmac_f32_e32 v66, v65, v67
	v_add_f32_e32 v70, 0xc5c00653, v66
.LBB0_64:
	s_andn2_saveexec_b32 s4, s4
; %bb.65:
	s_mov_b32 s6, 0x36c0af5a
	v_fmaak_f32 v66, s6, v65, 0xb89f1e53
	v_fmaak_f32 v66, v65, v66, 0x39767de4
	;; [unrolled: 1-line block ×6, first 2 shown]
; %bb.66:
	s_or_b32 exec_lo, exec_lo, s4
	v_div_scale_f32 v66, null, v65, v65, 0x3f490fdb
	v_rcp_f32_e32 v67, v66
	v_fma_f32 v68, -v66, v67, 1.0
	v_fmac_f32_e32 v67, v68, v67
	v_div_scale_f32 v68, vcc_lo, 0x3f490fdb, v65, 0x3f490fdb
	v_mul_f32_e32 v69, v68, v67
	v_fma_f32 v71, -v66, v69, v68
	v_fmac_f32_e32 v69, v71, v67
	v_fma_f32 v66, -v66, v69, v68
	v_div_fmas_f32 v66, v66, v67, v69
	v_div_fixup_f32 v66, v66, v65, 0x3f490fdb
	v_cmp_gt_f32_e32 vcc_lo, 0xf800000, v66
	v_mul_f32_e32 v67, 0x4f800000, v66
	v_cndmask_b32_e32 v66, v66, v67, vcc_lo
	v_sqrt_f32_e32 v67, v66
	v_add_nc_u32_e32 v68, -1, v67
	v_fma_f32 v69, -v68, v67, v66
	v_cmp_ge_f32_e64 s4, 0, v69
	v_add_nc_u32_e32 v69, 1, v67
	v_cndmask_b32_e64 v68, v67, v68, s4
	v_fma_f32 v67, -v69, v67, v66
	v_cmp_lt_f32_e64 s4, 0, v67
	v_cndmask_b32_e64 v67, v68, v69, s4
	s_mov_b32 s4, 0xb83af1e6
	v_mul_f32_e32 v68, 0x37800000, v67
	v_cndmask_b32_e32 v67, v67, v68, vcc_lo
	v_cmp_class_f32_e64 vcc_lo, v66, 0x260
	v_cndmask_b32_e32 v80, v67, v66, vcc_lo
	v_mul_f32_e32 v66, 0xbfb8aa3b, v65
	v_cmp_nlt_f32_e32 vcc_lo, 0x42ce8ed0, v65
	v_rndne_f32_e32 v67, v66
	v_sub_f32_e32 v68, v66, v67
	v_fma_f32 v66, 0xbfb8aa3b, v65, -v66
	v_cvt_i32_f32_e32 v67, v67
	v_fmamk_f32 v66, v65, 0xb2a5705f, v66
	v_add_f32_e32 v66, v68, v66
	v_exp_f32_e32 v66, v66
	v_ldexp_f32 v66, v66, v67
	v_div_scale_f32 v67, null, v65, v65, 0xca194e71
	v_cndmask_b32_e32 v66, 0, v66, vcc_lo
	v_rcp_f32_e32 v68, v67
	v_cmp_ngt_f32_e32 vcc_lo, 0xc2b17218, v65
	v_cndmask_b32_e32 v81, 0x7f800000, v66, vcc_lo
	v_fmaak_f32 v66, s4, v65, 0x3aa6cffa
	s_mov_b32 s4, 0xbda0e4fa
	v_fma_f32 v69, -v67, v68, 1.0
	v_mul_f32_e32 v70, v81, v70
	v_fmaak_f32 v66, v65, v66, 0xbe72a452
	v_fmac_f32_e32 v68, v69, v68
	v_div_scale_f32 v69, vcc_lo, 0xca194e71, v65, 0xca194e71
	v_fmaak_f32 v66, v65, v66, 0x4176edd6
	v_fmamk_f32 v70, v80, 0x396c2b78, v70
	v_mul_f32_e32 v71, v69, v68
	v_fmaak_f32 v66, v65, v66, 0xc402b325
	v_fma_f32 v82, -v67, v71, v69
	v_fmaak_f32 v66, v65, v66, 0x46258c7d
	v_fmac_f32_e32 v71, v82, v68
	v_fma_f32 v67, -v67, v71, v69
	v_div_fmas_f32 v67, v67, v68, v71
	v_div_fixup_f32 v67, v67, v65, 0xca194e71
	v_add_f32_e32 v67, 0x495520f6, v67
	v_div_scale_f32 v68, null, v65, v65, v67
	v_rcp_f32_e32 v69, v68
	v_fma_f32 v71, -v68, v69, 1.0
	v_fmac_f32_e32 v69, v71, v69
	v_div_scale_f32 v71, vcc_lo, v67, v65, v67
	v_mul_f32_e32 v82, v71, v69
	v_fma_f32 v83, -v68, v82, v71
	v_fmac_f32_e32 v82, v83, v69
	v_fma_f32 v68, -v68, v82, v71
	v_div_fmas_f32 v68, v68, v69, v82
	v_div_fixup_f32 v67, v68, v65, v67
	v_fmac_f32_e32 v67, v65, v66
	v_add_f32_e32 v66, 0xbe14ca72, v65
	v_add_f32_e32 v67, 0xc7fc5531, v67
	v_div_scale_f32 v68, null, v66, v66, 0x3e14ca72
	v_rcp_f32_e32 v69, v68
	v_fma_f32 v71, -v68, v69, 1.0
	v_fmac_f32_e32 v69, v71, v69
	v_div_scale_f32 v71, vcc_lo, 0x3e14ca72, v66, 0x3e14ca72
	v_mul_f32_e32 v82, v71, v69
	v_fma_f32 v83, -v68, v82, v71
	v_fmac_f32_e32 v82, v83, v69
	v_fma_f32 v68, -v68, v82, v71
	v_div_fmas_f32 v68, v68, v69, v82
	v_div_fixup_f32 v66, v68, v66, 0x3e14ca72
	v_div_scale_f32 v68, null, v65, v65, 0xce7434c4
	v_fmac_f32_e32 v66, v81, v67
	v_rcp_f32_e32 v69, v68
	v_fmaak_f32 v67, s4, v65, 0x40cb68be
	s_mov_b32 s4, 0xbe739c2f
	v_fmaak_f32 v67, v65, v67, 0xc3a92602
	v_fma_f32 v71, -v68, v69, 1.0
	v_fmaak_f32 v67, v65, v67, 0x46438033
	v_fmac_f32_e32 v69, v71, v69
	v_div_scale_f32 v71, vcc_lo, 0xce7434c4, v65, 0xce7434c4
	v_fmaak_f32 v67, v65, v67, 0xc89ab5f2
	v_mul_f32_e32 v82, v71, v69
	v_fma_f32 v83, -v68, v82, v71
	v_fmac_f32_e32 v82, v83, v69
	v_fma_f32 v68, -v68, v82, v71
	v_div_fmas_f32 v68, v68, v69, v82
	v_div_fixup_f32 v68, v68, v65, 0xce7434c4
	v_add_f32_e32 v68, 0x4db07acc, v68
	v_div_scale_f32 v69, null, v65, v65, v68
	v_rcp_f32_e32 v71, v69
	v_fma_f32 v82, -v69, v71, 1.0
	v_fmac_f32_e32 v71, v82, v71
	v_div_scale_f32 v82, vcc_lo, v68, v65, v68
	v_mul_f32_e32 v83, v82, v71
	v_fma_f32 v84, -v69, v83, v82
	v_fmac_f32_e32 v83, v84, v71
	v_fma_f32 v69, -v69, v83, v82
	v_div_fmas_f32 v69, v69, v71, v83
	v_div_fixup_f32 v68, v69, v65, v68
	v_add_f32_e32 v68, 0xcc5ff7d7, v68
	v_div_scale_f32 v69, null, v65, v65, v68
	v_rcp_f32_e32 v71, v69
	v_fma_f32 v82, -v69, v71, 1.0
	v_fmac_f32_e32 v71, v82, v71
	v_div_scale_f32 v82, vcc_lo, v68, v65, v68
	v_mul_f32_e32 v83, v82, v71
	v_fma_f32 v84, -v69, v83, v82
	v_fmac_f32_e32 v83, v84, v71
	v_fma_f32 v69, -v69, v83, v82
	v_div_fmas_f32 v69, v69, v71, v83
	v_div_fixup_f32 v68, v69, v65, v68
	v_fmac_f32_e32 v68, v65, v67
	v_add_f32_e32 v67, 0xbfab678a, v65
	v_add_f32_e32 v68, 0x4aa45f3c, v68
	v_div_scale_f32 v69, null, v67, v67, 0x3fab678a
	v_rcp_f32_e32 v71, v69
	v_fma_f32 v82, -v69, v71, 1.0
	v_fmac_f32_e32 v71, v82, v71
	v_div_scale_f32 v82, vcc_lo, 0x3fab678a, v67, 0x3fab678a
	v_mul_f32_e32 v83, v82, v71
	v_fma_f32 v84, -v69, v83, v82
	v_fmac_f32_e32 v83, v84, v71
	v_fma_f32 v69, -v69, v83, v82
	v_div_fmas_f32 v69, v69, v71, v83
	v_div_fixup_f32 v67, v69, v67, 0x3fab678a
	v_div_scale_f32 v69, null, v65, v65, 0xcf2bbe86
	v_fmac_f32_e32 v67, v81, v68
	v_rcp_f32_e32 v71, v69
	v_fmaak_f32 v68, s4, v65, 0x41934c39
	s_mov_b32 s4, 0xba1d77bb
	v_fmaak_f32 v68, v65, v68, 0xc47a8078
	v_fma_f32 v82, -v69, v71, 1.0
	v_fmaak_f32 v68, v65, v68, 0x47128b2f
	v_fmac_f32_e32 v71, v82, v71
	v_div_scale_f32 v82, vcc_lo, 0xcf2bbe86, v65, 0xcf2bbe86
	v_fmaak_f32 v68, v65, v68, 0xc968162b
	v_mul_f32_e32 v83, v82, v71
	v_fma_f32 v84, -v69, v83, v82
	v_fmac_f32_e32 v83, v84, v71
	v_fma_f32 v69, -v69, v83, v82
	v_div_fmas_f32 v69, v69, v71, v83
	v_div_fixup_f32 v69, v69, v65, 0xcf2bbe86
	v_add_f32_e32 v69, 0x4e7e374b, v69
	v_div_scale_f32 v71, null, v65, v65, v69
	v_rcp_f32_e32 v82, v71
	v_fma_f32 v83, -v71, v82, 1.0
	v_fmac_f32_e32 v82, v83, v82
	v_div_scale_f32 v83, vcc_lo, v69, v65, v69
	v_mul_f32_e32 v84, v83, v82
	v_fma_f32 v85, -v71, v84, v83
	v_fmac_f32_e32 v84, v85, v82
	v_fma_f32 v71, -v71, v84, v83
	v_div_fmas_f32 v71, v71, v82, v84
	v_div_fixup_f32 v69, v71, v65, v69
	v_add_f32_e32 v69, 0xcd2479c9, v69
	v_div_scale_f32 v71, null, v65, v65, v69
	v_rcp_f32_e32 v82, v71
	v_fma_f32 v83, -v71, v82, 1.0
	v_fmac_f32_e32 v82, v83, v82
	v_div_scale_f32 v83, vcc_lo, v69, v65, v69
	v_mul_f32_e32 v84, v83, v82
	v_fma_f32 v85, -v71, v84, v83
	v_fmac_f32_e32 v84, v85, v82
	v_fma_f32 v71, -v71, v84, v83
	v_div_fmas_f32 v71, v71, v82, v84
	v_div_fixup_f32 v69, v71, v65, v69
	v_fmac_f32_e32 v69, v65, v68
	v_add_f32_e32 v68, 0xc07b535f, v65
	v_add_f32_e32 v69, 0x4b74c7d3, v69
	v_div_scale_f32 v71, null, v68, v68, 0x407b535f
	v_rcp_f32_e32 v82, v71
	v_fma_f32 v83, -v71, v82, 1.0
	v_fmac_f32_e32 v82, v83, v82
	v_div_scale_f32 v83, vcc_lo, 0x407b535f, v68, 0x407b535f
	v_mul_f32_e32 v84, v83, v82
	v_fma_f32 v85, -v71, v84, v83
	v_fmac_f32_e32 v84, v85, v82
	v_fma_f32 v71, -v71, v84, v83
	v_div_fmas_f32 v71, v71, v82, v84
	v_div_fixup_f32 v68, v71, v68, 0x407b535f
	v_div_scale_f32 v71, null, v65, v65, 0x4c0527dc
	v_fmac_f32_e32 v68, v81, v69
	v_rcp_f32_e32 v82, v71
	v_fmaak_f32 v69, s4, v65, 0xbeba9d10
	s_mov_b32 s4, 0x3977e039
	v_fmaak_f32 v69, v65, v69, 0x417bfe6a
	v_fma_f32 v83, -v71, v82, 1.0
	v_fmaak_f32 v69, v65, v69, 0xc423bc6f
	v_fmac_f32_e32 v82, v83, v82
	v_div_scale_f32 v83, vcc_lo, 0x4c0527dc, v65, 0x4c0527dc
	v_fmaak_f32 v69, v65, v69, 0x46857602
	v_mul_f32_e32 v84, v83, v82
	v_fmaak_f32 v69, v65, v69, 0xc88ddabe
	v_fma_f32 v85, -v71, v84, v83
	v_fmac_f32_e32 v84, v85, v82
	v_fma_f32 v71, -v71, v84, v83
	v_div_fmas_f32 v71, v71, v82, v84
	v_div_fixup_f32 v71, v71, v65, 0x4c0527dc
	v_add_f32_e32 v71, 0xcb7baf74, v71
	v_div_scale_f32 v82, null, v65, v65, v71
	v_rcp_f32_e32 v83, v82
	v_fma_f32 v84, -v82, v83, 1.0
	v_fmac_f32_e32 v83, v84, v83
	v_div_scale_f32 v84, vcc_lo, v71, v65, v71
	v_mul_f32_e32 v85, v84, v83
	v_fma_f32 v86, -v82, v85, v84
	v_fmac_f32_e32 v85, v86, v83
	v_fma_f32 v82, -v82, v85, v84
	v_div_fmas_f32 v82, v82, v83, v85
	v_div_fixup_f32 v71, v82, v65, v71
	v_fmac_f32_e32 v71, v65, v69
	v_add_f32_e32 v69, 0xc1096b0d, v65
	v_add_f32_e32 v71, 0x4a3529ce, v71
	v_div_scale_f32 v82, null, v69, v69, 0x41096b0d
	v_rcp_f32_e32 v83, v82
	v_fma_f32 v84, -v82, v83, 1.0
	v_fmac_f32_e32 v83, v84, v83
	v_div_scale_f32 v84, vcc_lo, 0x41096b0d, v69, 0x41096b0d
	v_mul_f32_e32 v85, v84, v83
	v_fma_f32 v86, -v82, v85, v84
	v_fmac_f32_e32 v85, v86, v83
	v_fma_f32 v82, -v82, v85, v84
	v_div_fmas_f32 v82, v82, v83, v85
	v_div_fixup_f32 v69, v82, v69, 0x41096b0d
	v_div_scale_f32 v82, null, v65, v65, 0x4c46ea5e
	v_fmac_f32_e32 v69, v81, v71
	v_rcp_f32_e32 v83, v82
	v_fmaak_f32 v71, s4, v65, 0xbc1634c4
	s_mov_b32 s4, 0x3a3f52db
	v_fmaak_f32 v71, v65, v71, 0x3eeca3b6
	v_fma_f32 v84, -v82, v83, 1.0
	v_fmaak_f32 v71, v65, v71, 0xc19d8e16
	v_fmac_f32_e32 v83, v84, v83
	v_div_scale_f32 v84, vcc_lo, 0x4c46ea5e, v65, 0x4c46ea5e
	v_fmaak_f32 v71, v65, v71, 0x43f995a8
	v_mul_f32_e32 v85, v84, v83
	v_fmaak_f32 v71, v65, v71, 0xc5c23196
	v_fma_f32 v86, -v82, v85, v84
	v_fmac_f32_e32 v85, v86, v83
	v_fma_f32 v82, -v82, v85, v84
	v_div_fmas_f32 v82, v82, v83, v85
	v_div_fixup_f32 v82, v82, v65, 0x4c46ea5e
	v_add_f32_e32 v82, 0xcb4ca412, v82
	v_div_scale_f32 v83, null, v65, v65, v82
	v_rcp_f32_e32 v84, v83
	v_fma_f32 v85, -v83, v84, 1.0
	v_fmac_f32_e32 v84, v85, v84
	v_div_scale_f32 v85, vcc_lo, v82, v65, v82
	v_mul_f32_e32 v86, v85, v84
	v_fma_f32 v87, -v83, v86, v85
	v_fmac_f32_e32 v86, v87, v84
	v_fma_f32 v83, -v83, v86, v85
	v_div_fmas_f32 v83, v83, v84, v86
	v_div_fixup_f32 v82, v83, v65, v82
	v_add_f32_e32 v82, 0x498ac2e8, v82
	v_div_scale_f32 v83, null, v65, v65, v82
	v_rcp_f32_e32 v84, v83
	v_fma_f32 v85, -v83, v84, 1.0
	v_fmac_f32_e32 v84, v85, v84
	v_div_scale_f32 v85, vcc_lo, v82, v65, v82
	v_mul_f32_e32 v86, v85, v84
	v_fma_f32 v87, -v83, v86, v85
	v_fmac_f32_e32 v86, v87, v84
	v_fma_f32 v83, -v83, v86, v85
	v_div_fmas_f32 v83, v83, v84, v86
	v_div_fixup_f32 v82, v83, v65, v82
	v_div_scale_f32 v83, null, v65, v65, 0x4b6c15fd
	v_fmac_f32_e32 v82, v65, v71
	v_rcp_f32_e32 v84, v83
	v_add_f32_e32 v71, 0xc52ff030, v82
	v_fmaak_f32 v82, s4, v65, 0xbd10f50f
	v_mul_f32_e32 v71, v81, v71
	v_fma_f32 v85, -v83, v84, 1.0
	v_fmaak_f32 v82, v65, v82, 0x4004fd88
	v_fmamk_f32 v71, v80, 0x3c9ddd0b, v71
	v_fmac_f32_e32 v84, v85, v84
	v_div_scale_f32 v85, vcc_lo, 0x4b6c15fd, v65, 0x4b6c15fd
	v_fmaak_f32 v82, v65, v82, 0xc2c8edee
	v_mul_f32_e32 v86, v85, v84
	v_fmaak_f32 v82, v65, v82, 0x454500fa
	v_fma_f32 v87, -v83, v86, v85
	v_fmaak_f32 v82, v65, v82, 0xc774f179
	v_fmac_f32_e32 v86, v87, v84
	v_fma_f32 v83, -v83, v86, v85
	v_div_fmas_f32 v83, v83, v84, v86
	v_div_fixup_f32 v83, v83, v65, 0x4b6c15fd
	v_add_f32_e32 v83, 0xcaa08b90, v83
	v_div_scale_f32 v84, null, v65, v65, v83
	v_rcp_f32_e32 v85, v84
	v_fma_f32 v86, -v84, v85, 1.0
	v_fmac_f32_e32 v85, v86, v85
	v_div_scale_f32 v86, vcc_lo, v83, v65, v83
	v_mul_f32_e32 v87, v86, v85
	v_fma_f32 v96, -v84, v87, v86
	v_fmac_f32_e32 v87, v96, v85
	v_fma_f32 v84, -v84, v87, v86
	v_div_fmas_f32 v84, v84, v85, v87
	v_div_fixup_f32 v83, v84, v65, v83
	v_fmac_f32_e32 v83, v65, v82
	v_add_f32_e32 v82, 0x493b49f6, v83
	v_div_scale_f32 v83, null, v65, v65, 0x3e48f136
	v_mul_f32_e32 v82, v81, v82
	v_rcp_f32_e32 v84, v83
	v_fmamk_f32 v82, v80, 0x3e701b7a, v82
	v_fma_f32 v85, -v83, v84, 1.0
	v_fmac_f32_e32 v84, v85, v84
	v_div_scale_f32 v85, vcc_lo, 0x3e48f136, v65, 0x3e48f136
	v_mul_f32_e32 v86, v85, v84
	v_fma_f32 v87, -v83, v86, v85
	v_fmac_f32_e32 v86, v87, v84
	v_fma_f32 v83, -v83, v86, v85
	v_div_fmas_f32 v83, v83, v84, v86
	v_div_fixup_f32 v83, v83, v65, 0x3e48f136
	v_add_f32_e32 v83, 0xbefe708c, v83
	v_div_scale_f32 v84, null, v65, v65, v83
	v_rcp_f32_e32 v85, v84
	v_fma_f32 v86, -v84, v85, 1.0
	v_fmac_f32_e32 v85, v86, v85
	v_div_scale_f32 v86, vcc_lo, v83, v65, v83
	v_mul_f32_e32 v87, v86, v85
	v_fma_f32 v96, -v84, v87, v86
	v_fmac_f32_e32 v87, v96, v85
	v_fma_f32 v84, -v84, v87, v86
	v_div_fmas_f32 v84, v84, v85, v87
	v_div_fixup_f32 v65, v84, v65, v83
	v_add_f32_e32 v65, 0xb87c50a3, v65
	v_fmac_f32_e32 v80, v81, v65
	v_sub_f32_e32 v65, v80, v82
	v_sub_f32_e32 v65, v65, v71
	;; [unrolled: 1-line block ×3, first 2 shown]
                                        ; implicit-def: $vgpr65
.LBB0_67:
	s_andn2_saveexec_b32 s16, s5
	s_cbranch_execz .LBB0_73
; %bb.68:
	v_div_scale_f32 v66, null, v65, v65, 0x3f490fdb
	v_div_scale_f32 v69, vcc_lo, 0x3f490fdb, v65, 0x3f490fdb
	v_add_f32_e32 v86, 0xc1096b0d, v65
	v_rcp_f32_e32 v67, v66
	v_add_f32_e32 v85, 0xc07b535f, v65
	v_add_f32_e32 v83, 0xbfab678a, v65
	;; [unrolled: 1-line block ×3, first 2 shown]
                                        ; implicit-def: $vgpr82
                                        ; implicit-def: $vgpr84
	v_fma_f32 v68, -v66, v67, 1.0
	v_fmac_f32_e32 v67, v68, v67
	v_mul_f32_e32 v68, v69, v67
	v_fma_f32 v70, -v66, v68, v69
	v_fmac_f32_e32 v68, v70, v67
	v_fma_f32 v66, -v66, v68, v69
	v_div_fmas_f32 v66, v66, v67, v68
	v_div_fixup_f32 v66, v66, v65, 0x3f490fdb
	v_mul_f32_e32 v67, 0x4f800000, v66
	v_cmp_gt_f32_e32 vcc_lo, 0xf800000, v66
	v_cndmask_b32_e32 v66, v66, v67, vcc_lo
	v_sqrt_f32_e32 v67, v66
	v_add_nc_u32_e32 v68, -1, v67
	v_add_nc_u32_e32 v69, 1, v67
	v_fma_f32 v70, -v68, v67, v66
	v_fma_f32 v71, -v69, v67, v66
	v_cmp_ge_f32_e64 s4, 0, v70
                                        ; implicit-def: $vgpr70
	v_cndmask_b32_e64 v67, v67, v68, s4
	v_cmp_lt_f32_e64 s4, 0, v71
                                        ; implicit-def: $vgpr71
	v_cndmask_b32_e64 v67, v67, v69, s4
	v_cmp_ge_f32_e64 s4, 0x42540000, v65
                                        ; implicit-def: $vgpr69
	v_mul_f32_e32 v68, 0x37800000, v67
	v_cndmask_b32_e32 v67, v67, v68, vcc_lo
	v_cmp_class_f32_e64 vcc_lo, v66, 0x260
                                        ; implicit-def: $vgpr68
	v_cndmask_b32_e32 v80, v67, v66, vcc_lo
                                        ; implicit-def: $vgpr67
                                        ; implicit-def: $vgpr66
	s_and_saveexec_b32 s5, s4
	s_xor_b32 s4, exec_lo, s5
	s_cbranch_execz .LBB0_70
; %bb.69:
	v_mul_f32_e32 v66, 0xbfb8aa3b, v65
	v_cmp_nlt_f32_e32 vcc_lo, 0x42ce8ed0, v65
	s_mov_b32 s5, 0x3e76c4e1
	v_rndne_f32_e32 v67, v66
	v_sub_f32_e32 v68, v66, v67
	v_fma_f32 v66, 0xbfb8aa3b, v65, -v66
	v_cvt_i32_f32_e32 v67, v67
	v_fmamk_f32 v66, v65, 0xb2a5705f, v66
	v_add_f32_e32 v66, v68, v66
	v_exp_f32_e32 v66, v66
	v_ldexp_f32 v66, v66, v67
	v_cndmask_b32_e32 v66, 0, v66, vcc_lo
	v_cmp_ngt_f32_e32 vcc_lo, 0xc2b17218, v65
	v_cndmask_b32_e32 v68, 0x7f800000, v66, vcc_lo
	v_cmp_eq_f32_e32 vcc_lo, 1.0, v65
	v_frexp_mant_f32_e32 v66, v65
	v_cndmask_b32_e64 v69, 4.0, 1.0, vcc_lo
	v_cmp_gt_f32_e32 vcc_lo, 0x3f2aaaab, v66
	v_cndmask_b32_e64 v67, 1.0, 2.0, vcc_lo
	v_mul_f32_e32 v66, v66, v67
	v_add_f32_e32 v70, 1.0, v66
	v_add_f32_e32 v67, -1.0, v66
	v_add_f32_e32 v71, -1.0, v70
	v_sub_f32_e32 v66, v66, v71
	v_rcp_f32_e32 v71, v70
	v_mul_f32_e32 v82, v67, v71
	v_mul_f32_e32 v84, v70, v82
	v_fma_f32 v70, v82, v70, -v84
	v_fmac_f32_e32 v70, v82, v66
	v_add_f32_e32 v66, v84, v70
	v_sub_f32_e32 v87, v67, v66
	v_sub_f32_e32 v84, v66, v84
	;; [unrolled: 1-line block ×5, first 2 shown]
	v_add_f32_e32 v66, v67, v66
	v_add_f32_e32 v66, v87, v66
	v_mul_f32_e32 v66, v71, v66
	v_add_f32_e32 v70, v82, v66
	v_sub_f32_e32 v67, v70, v82
	v_sub_f32_e32 v71, v66, v67
	v_mul_f32_e32 v66, v70, v70
	v_add_f32_e32 v82, v71, v71
	v_fma_f32 v67, v70, v70, -v66
	v_fmac_f32_e32 v67, v70, v82
	v_add_f32_e32 v82, v66, v67
	v_sub_f32_e32 v66, v82, v66
	v_fmaak_f32 v84, s5, v82, 0x3e91f4c4
	s_mov_b32 s5, 0xbb0f9cc4
	v_sub_f32_e32 v66, v67, v66
	v_mul_f32_e32 v67, v70, v82
	v_fmaak_f32 v84, v82, v84, 0x3ecccdef
	v_fma_f32 v87, v82, v70, -v67
	v_fmac_f32_e32 v87, v82, v71
	v_ldexp_f32 v71, v71, 1
	v_fmac_f32_e32 v87, v66, v70
	v_ldexp_f32 v70, v70, 1
	v_add_f32_e32 v96, v67, v87
	v_sub_f32_e32 v67, v96, v67
	v_sub_f32_e32 v67, v87, v67
	v_mul_f32_e32 v87, v82, v84
	v_fma_f32 v82, v82, v84, -v87
	v_fmac_f32_e32 v82, v66, v84
	v_add_f32_e32 v66, v87, v82
	v_add_f32_e32 v84, 0x3f2aaaaa, v66
	v_sub_f32_e32 v87, v66, v87
	v_sub_f32_e32 v82, v82, v87
	v_add_f32_e32 v87, 0xbf2aaaaa, v84
	v_add_f32_e32 v82, 0x31739010, v82
	v_sub_f32_e32 v66, v66, v87
	v_add_f32_e32 v66, v82, v66
	v_add_f32_e32 v82, v84, v66
	v_sub_f32_e32 v84, v84, v82
	v_add_f32_e32 v66, v66, v84
	v_mul_f32_e32 v84, v96, v82
	v_fma_f32 v87, v96, v82, -v84
	v_fmac_f32_e32 v87, v96, v66
	v_fmac_f32_e32 v87, v67, v82
	v_cvt_f64_f32_e32 v[66:67], v65
	v_frexp_exp_i32_f64_e32 v66, v[66:67]
	v_subrev_co_ci_u32_e64 v66, null, 0, v66, vcc_lo
	v_cvt_f32_i32_e32 v66, v66
	v_mul_f32_e32 v67, 0x3f317218, v66
	v_fma_f32 v82, 0x3f317218, v66, -v67
	v_fmamk_f32 v66, v66, 0xb102e308, v82
	v_add_f32_e32 v82, v67, v66
	v_sub_f32_e32 v67, v82, v67
	v_sub_f32_e32 v66, v66, v67
	v_add_f32_e32 v67, v84, v87
	v_sub_f32_e32 v84, v67, v84
	v_sub_f32_e32 v84, v87, v84
	;; [unrolled: 3-line block ×3, first 2 shown]
	v_add_f32_e32 v70, v71, v84
	v_add_f32_e32 v67, v70, v67
	v_add_f32_e32 v70, v87, v67
	v_sub_f32_e32 v71, v70, v87
	v_sub_f32_e32 v67, v67, v71
	v_add_f32_e32 v71, v82, v70
	v_sub_f32_e32 v84, v71, v82
	v_sub_f32_e32 v87, v71, v84
	;; [unrolled: 1-line block ×4, first 2 shown]
	v_add_f32_e32 v70, v70, v82
	v_add_f32_e32 v82, v66, v67
	v_sub_f32_e32 v84, v82, v66
	v_sub_f32_e32 v87, v82, v84
	;; [unrolled: 1-line block ×4, first 2 shown]
	v_add_f32_e32 v66, v67, v66
	v_add_f32_e32 v67, v82, v70
	;; [unrolled: 1-line block ×3, first 2 shown]
	v_sub_f32_e32 v71, v70, v71
	v_sub_f32_e32 v67, v67, v71
	v_add_f32_e32 v66, v66, v67
	v_add_f32_e32 v67, v70, v66
	v_sub_f32_e32 v70, v67, v70
	v_sub_f32_e32 v66, v66, v70
	v_mul_f32_e32 v70, v69, v67
	v_fma_f32 v67, v69, v67, -v70
	v_cmp_class_f32_e64 vcc_lo, v70, 0x204
	v_fmac_f32_e32 v67, v69, v66
	v_add_f32_e32 v66, v70, v67
	v_sub_f32_e32 v69, v66, v70
	v_cndmask_b32_e32 v66, v66, v70, vcc_lo
	v_sub_f32_e32 v67, v67, v69
	v_cmp_neq_f32_e64 vcc_lo, 0x7f800000, |v66|
	v_cndmask_b32_e32 v67, 0, v67, vcc_lo
	v_cmp_eq_f32_e32 vcc_lo, 0x42b17218, v66
	v_cndmask_b32_e64 v69, 0, 0x37000000, vcc_lo
	v_sub_f32_e32 v66, v66, v69
	v_add_f32_e32 v67, v69, v67
	v_mul_f32_e32 v69, 0x3fb8aa3b, v66
	v_cmp_ngt_f32_e32 vcc_lo, 0xc2ce8ed0, v66
	v_fma_f32 v70, 0x3fb8aa3b, v66, -v69
	v_rndne_f32_e32 v71, v69
	v_fmamk_f32 v70, v66, 0x32a5705f, v70
	v_sub_f32_e32 v69, v69, v71
	v_add_f32_e32 v69, v69, v70
	v_cvt_i32_f32_e32 v70, v71
	v_exp_f32_e32 v69, v69
	v_ldexp_f32 v69, v69, v70
	v_cndmask_b32_e32 v69, 0, v69, vcc_lo
	v_cmp_nlt_f32_e32 vcc_lo, 0x42b17218, v66
	v_cndmask_b32_e32 v66, 0x7f800000, v69, vcc_lo
	v_fma_f32 v67, v66, v67, v66
	v_cmp_class_f32_e64 vcc_lo, v66, 0x204
	v_cndmask_b32_e32 v66, v67, v66, vcc_lo
	v_div_scale_f32 v67, null, v86, v86, 0x41096b0d
	v_mul_f32_e64 v82, v68, |v66|
	v_rcp_f32_e32 v68, v67
	v_fmaak_f32 v66, s5, v65, 0xbdf3ef08
	s_mov_b32 s5, 0xba7d3098
	v_fmaak_f32 v66, v65, v66, 0xbf400fa6
	v_fma_f32 v69, -v67, v68, 1.0
	v_fmac_f32_e32 v68, v69, v68
	v_div_scale_f32 v69, vcc_lo, 0x41096b0d, v86, 0x41096b0d
	v_mul_f32_e32 v70, v69, v68
	v_fma_f32 v71, -v67, v70, v69
	v_fmac_f32_e32 v70, v71, v68
	v_fma_f32 v67, -v67, v70, v69
	v_div_fmas_f32 v67, v67, v68, v70
	v_div_fixup_f32 v69, v67, v86, 0x41096b0d
	v_div_scale_f32 v67, null, v85, v85, 0x407b535f
                                        ; implicit-def: $vgpr86
	v_fmac_f32_e32 v69, v66, v82
	v_rcp_f32_e32 v68, v67
	v_fmaak_f32 v66, s5, v65, 0xbd383f42
	s_mov_b32 s5, 0xb9be174b
	v_fmaak_f32 v66, v65, v66, 0x3f1bd945
	v_fma_f32 v70, -v67, v68, 1.0
	v_fmac_f32_e32 v68, v70, v68
	v_div_scale_f32 v70, vcc_lo, 0x407b535f, v85, 0x407b535f
	v_mul_f32_e32 v71, v70, v68
	v_fma_f32 v84, -v67, v71, v70
	v_fmac_f32_e32 v71, v84, v68
	v_fma_f32 v67, -v67, v71, v70
	v_div_fmas_f32 v67, v67, v68, v71
	v_div_fixup_f32 v68, v67, v85, 0x407b535f
	v_div_scale_f32 v67, null, v83, v83, 0x3fab678a
	v_fmac_f32_e32 v68, v66, v82
	v_rcp_f32_e32 v70, v67
	v_fmaak_f32 v66, s5, v65, 0xbc14f7f1
	s_mov_b32 s5, 0xb82af128
	v_fmaak_f32 v66, v65, v66, 0x3e3cc2c7
	v_fma_f32 v71, -v67, v70, 1.0
	v_fmac_f32_e32 v70, v71, v70
	v_div_scale_f32 v71, vcc_lo, 0x3fab678a, v83, 0x3fab678a
	v_mul_f32_e32 v84, v71, v70
	v_fma_f32 v85, -v67, v84, v71
	v_fmac_f32_e32 v84, v85, v70
	v_fma_f32 v67, -v67, v84, v71
	v_div_fmas_f32 v67, v67, v70, v84
	v_div_fixup_f32 v67, v67, v83, 0x3fab678a
	v_fmac_f32_e32 v67, v66, v82
	v_fmaak_f32 v66, s5, v65, 0xba3493bb
	s_mov_b32 s5, 0x36c17c4f
	v_fmaak_f32 v70, v65, v66, 0x3c8f228e
	v_div_scale_f32 v66, null, v81, v81, 0x3e14ca72
	v_rcp_f32_e32 v71, v66
	v_fma_f32 v83, -v66, v71, 1.0
	v_fmac_f32_e32 v71, v83, v71
	v_div_scale_f32 v83, vcc_lo, 0x3e14ca72, v81, 0x3e14ca72
	v_mul_f32_e32 v84, v83, v71
	v_fma_f32 v85, -v66, v84, v83
	v_fmac_f32_e32 v84, v85, v71
                                        ; implicit-def: $vgpr85
	v_fma_f32 v66, -v66, v84, v83
                                        ; implicit-def: $vgpr83
	v_div_fmas_f32 v66, v66, v71, v84
	v_div_fixup_f32 v66, v66, v81, 0x3e14ca72
	v_fmac_f32_e32 v66, v70, v82
	v_fmaak_f32 v70, s5, v65, 0xb8a5812b
	s_mov_b32 s5, 0x395a69c1
	v_fmaak_f32 v71, s5, v65, 0xbb77644e
	s_mov_b32 s5, 0x3a219432
	v_fmaak_f32 v70, v65, v70, 0x39ac1f68
	v_fmaak_f32 v81, s5, v65, 0xbc4f9ac2
	v_fmaak_f32 v71, v65, v71, 0x3cabea3c
	v_mul_f32_e32 v70, v70, v82
	v_fmaak_f32 v65, v65, v81, 0x3da6cf84
                                        ; implicit-def: $vgpr81
	v_mul_f32_e32 v71, v71, v82
	v_fmamk_f32 v70, v80, 0x396c2b78, v70
	v_mul_f32_e32 v65, v65, v82
	v_fmamk_f32 v71, v80, 0x3c9ddd0b, v71
	v_fmamk_f32 v82, v80, 0x3e701b7a, v65
	v_sub_f32_e32 v65, v80, v82
                                        ; implicit-def: $vgpr80
	v_sub_f32_e32 v65, v65, v71
	v_sub_f32_e32 v84, v65, v70
.LBB0_70:
	s_andn2_saveexec_b32 s17, s4
	s_cbranch_execz .LBB0_72
; %bb.71:
	v_div_scale_f32 v65, null, v81, v81, 0x3e14ca72
	v_div_scale_f32 v66, null, v83, v83, 0x3fab678a
	;; [unrolled: 1-line block ×3, first 2 shown]
	v_rcp_f32_e32 v67, v65
	v_div_scale_f32 v69, null, v86, v86, 0x41096b0d
	v_rcp_f32_e32 v70, v66
	v_rcp_f32_e32 v71, v68
	v_div_scale_f32 v96, vcc_lo, 0x3e14ca72, v81, 0x3e14ca72
	v_rcp_f32_e32 v82, v69
	v_fma_f32 v84, -v65, v67, 1.0
	v_fma_f32 v87, -v66, v70, 1.0
	;; [unrolled: 1-line block ×3, first 2 shown]
	v_fmac_f32_e32 v67, v84, v67
	v_div_scale_f32 v84, s4, 0x3fab678a, v83, 0x3fab678a
	v_fma_f32 v98, -v69, v82, 1.0
	v_fmac_f32_e32 v70, v87, v70
	v_fmac_f32_e32 v71, v97, v71
	v_div_scale_f32 v87, s5, 0x407b535f, v85, 0x407b535f
	v_fmac_f32_e32 v82, v98, v82
	v_mul_f32_e32 v98, v96, v67
	v_div_scale_f32 v97, s6, 0x41096b0d, v86, 0x41096b0d
	v_mul_f32_e32 v99, v84, v70
	v_mul_f32_e32 v100, v87, v71
	v_fma_f32 v102, -v65, v98, v96
	v_mul_f32_e32 v101, v97, v82
	v_fma_f32 v103, -v66, v99, v84
	v_fma_f32 v112, -v68, v100, v87
	v_fmac_f32_e32 v98, v102, v67
	v_fma_f32 v113, -v69, v101, v97
	v_fmac_f32_e32 v99, v103, v70
	v_fmac_f32_e32 v100, v112, v71
	v_fma_f32 v65, -v65, v98, v96
	v_fmac_f32_e32 v101, v113, v82
	v_fma_f32 v66, -v66, v99, v84
	v_fma_f32 v68, -v68, v100, v87
	v_div_fmas_f32 v65, v65, v67, v98
	s_mov_b32 vcc_lo, s4
	v_fma_f32 v69, -v69, v101, v97
	v_div_fmas_f32 v67, v66, v70, v99
	v_fmamk_f32 v70, v80, 0xbe701b7a, v80
	s_mov_b32 vcc_lo, s5
	v_div_fixup_f32 v66, v65, v81, 0x3e14ca72
	v_div_fmas_f32 v68, v68, v71, v100
	s_mov_b32 vcc_lo, s6
	v_fmamk_f32 v65, v80, 0xbc9ddd0b, v70
	v_div_fmas_f32 v69, v69, v82, v101
	v_div_fixup_f32 v67, v67, v83, 0x3fab678a
	v_div_fixup_f32 v68, v68, v85, 0x407b535f
	v_mul_f32_e32 v70, 0x396c2b78, v80
	v_mul_f32_e32 v71, 0x3c9ddd0b, v80
	v_div_fixup_f32 v69, v69, v86, 0x41096b0d
	v_mul_f32_e32 v82, 0x3e701b7a, v80
	v_fmamk_f32 v84, v80, 0xb96c2b78, v65
.LBB0_72:
	s_or_b32 exec_lo, exec_lo, s17
.LBB0_73:
	s_or_b32 exec_lo, exec_lo, s16
.LBB0_74:
	s_or_b32 exec_lo, exec_lo, s15
.LBB0_75:
	s_or_b32 exec_lo, exec_lo, s14
.LBB0_76:
	s_or_b32 exec_lo, exec_lo, s13
.LBB0_77:
	s_or_b32 exec_lo, exec_lo, s12
.LBB0_78:
	s_or_b32 exec_lo, exec_lo, s11
.LBB0_79:
	s_or_b32 exec_lo, exec_lo, s10
	buffer_store_dword v66, off, s[0:3], s32
	buffer_store_dword v84, off, s[0:3], s32 offset:32
	buffer_store_dword v67, off, s[0:3], s32 offset:4
	;; [unrolled: 1-line block ×7, first 2 shown]
.LBB0_80:
	s_or_b32 exec_lo, exec_lo, s9
.LBB0_81:
	s_or_b32 exec_lo, exec_lo, s7
                                        ; implicit-def: $vgpr65
.LBB0_82:
	s_andn2_saveexec_b32 s8, s8
	s_cbranch_execz .LBB0_221
; %bb.83:
                                        ; implicit-def: $vgpr70
                                        ; implicit-def: $vgpr71
                                        ; implicit-def: $vgpr66
                                        ; implicit-def: $vgpr69
                                        ; implicit-def: $vgpr68
                                        ; implicit-def: $vgpr67
	s_mov_b32 s4, exec_lo
	v_cmpx_ngt_f32_e32 0x34a10fb0, v65
	s_xor_b32 s9, exec_lo, s4
	s_cbranch_execz .LBB0_202
; %bb.84:
                                        ; implicit-def: $vgpr70
                                        ; implicit-def: $vgpr71
                                        ; implicit-def: $vgpr66
                                        ; implicit-def: $vgpr69
                                        ; implicit-def: $vgpr68
                                        ; implicit-def: $vgpr67
	s_mov_b32 s4, exec_lo
	v_cmpx_ngt_f32_e32 1.0, v65
	s_xor_b32 s10, exec_lo, s4
	s_cbranch_execz .LBB0_188
; %bb.85:
                                        ; implicit-def: $vgpr70
                                        ; implicit-def: $vgpr71
                                        ; implicit-def: $vgpr66
                                        ; implicit-def: $vgpr69
                                        ; implicit-def: $vgpr68
                                        ; implicit-def: $vgpr67
	s_mov_b32 s4, exec_lo
	v_cmpx_ngt_f32_e32 0x40400000, v65
	s_xor_b32 s11, exec_lo, s4
	s_cbranch_execz .LBB0_174
; %bb.86:
                                        ; implicit-def: $vgpr70
                                        ; implicit-def: $vgpr71
                                        ; implicit-def: $vgpr66
                                        ; implicit-def: $vgpr69
                                        ; implicit-def: $vgpr68
                                        ; implicit-def: $vgpr67
	s_mov_b32 s4, exec_lo
	v_cmpx_ngt_f32_e32 0x40a00000, v65
	;; [unrolled: 11-line block ×5, first 2 shown]
	s_xor_b32 s7, exec_lo, s4
	s_cbranch_execz .LBB0_111
; %bb.90:
	v_div_scale_f32 v66, null, v65, v65, 0x3f490fdb
	v_div_scale_f32 v69, vcc_lo, 0x3f490fdb, v65, 0x3f490fdb
	v_rcp_f32_e32 v67, v66
	v_fma_f32 v68, -v66, v67, 1.0
	v_fmac_f32_e32 v67, v68, v67
	v_mul_f32_e32 v68, v69, v67
	v_fma_f32 v70, -v66, v68, v69
	v_fmac_f32_e32 v68, v70, v67
	v_fma_f32 v66, -v66, v68, v69
	v_div_fmas_f32 v66, v66, v67, v68
	v_div_fixup_f32 v66, v66, v65, 0x3f490fdb
	v_mul_f32_e32 v67, 0x4f800000, v66
	v_cmp_gt_f32_e32 vcc_lo, 0xf800000, v66
	v_cndmask_b32_e32 v66, v66, v67, vcc_lo
	v_sqrt_f32_e32 v67, v66
	v_add_nc_u32_e32 v68, -1, v67
	v_add_nc_u32_e32 v69, 1, v67
	v_fma_f32 v70, -v68, v67, v66
	v_fma_f32 v71, -v69, v67, v66
	v_cmp_ge_f32_e64 s4, 0, v70
                                        ; implicit-def: $vgpr70
	v_cndmask_b32_e64 v67, v67, v68, s4
	v_cmp_lt_f32_e64 s4, 0, v71
                                        ; implicit-def: $vgpr71
	v_cndmask_b32_e64 v67, v67, v69, s4
                                        ; implicit-def: $vgpr69
	s_mov_b32 s4, exec_lo
	v_mul_f32_e32 v68, 0x37800000, v67
	v_cndmask_b32_e32 v67, v67, v68, vcc_lo
	v_cmp_class_f32_e64 vcc_lo, v66, 0x260
                                        ; implicit-def: $vgpr68
	v_cndmask_b32_e32 v66, v67, v66, vcc_lo
                                        ; implicit-def: $vgpr67
	v_cmpx_lt_i32_e32 0, v9
	s_xor_b32 s15, exec_lo, s4
	s_cbranch_execz .LBB0_106
; %bb.91:
                                        ; implicit-def: $vgpr70
                                        ; implicit-def: $vgpr71
                                        ; implicit-def: $vgpr69
                                        ; implicit-def: $vgpr68
                                        ; implicit-def: $vgpr67
	s_mov_b32 s4, exec_lo
	v_cmpx_lt_i32_e32 1, v9
	s_xor_b32 s16, exec_lo, s4
	s_cbranch_execz .LBB0_99
; %bb.92:
	v_mov_b32_e32 v70, 0
	v_mov_b32_e32 v71, 0
	;; [unrolled: 1-line block ×5, first 2 shown]
	s_mov_b32 s17, exec_lo
	v_cmpx_eq_u32_e32 2, v9
	s_cbranch_execz .LBB0_98
; %bb.93:
                                        ; implicit-def: $vgpr70
                                        ; implicit-def: $vgpr71
                                        ; implicit-def: $vgpr69
                                        ; implicit-def: $vgpr68
                                        ; implicit-def: $vgpr67
	s_mov_b32 s4, exec_lo
	v_cmpx_ngt_f32_e32 0x423c0000, v65
	s_xor_b32 s6, exec_lo, s4
	s_cbranch_execz .LBB0_95
; %bb.94:
	v_add_f32_e32 v67, 0xbe42ba39, v65
	v_add_f32_e32 v68, 0xbfe46a42, v65
	;; [unrolled: 1-line block ×3, first 2 shown]
	v_div_scale_f32 v69, null, v67, v67, 0x3e42ba39
	v_div_scale_f32 v70, null, v68, v68, 0x3fe46a42
	;; [unrolled: 1-line block ×3, first 2 shown]
	v_rcp_f32_e32 v81, v69
	v_rcp_f32_e32 v82, v70
	v_div_scale_f32 v84, vcc_lo, 0x3e42ba39, v67, 0x3e42ba39
	v_rcp_f32_e32 v83, v80
	v_div_scale_f32 v85, s4, 0x3fe46a42, v68, 0x3fe46a42
	v_div_scale_f32 v96, s5, 0x40b0cf9e, v65, 0x40b0cf9e
	v_fma_f32 v71, -v69, v81, 1.0
	v_fma_f32 v86, -v70, v82, 1.0
	;; [unrolled: 1-line block ×3, first 2 shown]
	v_fmac_f32_e32 v81, v71, v81
	v_fmac_f32_e32 v82, v86, v82
	;; [unrolled: 1-line block ×3, first 2 shown]
	v_mul_f32_e32 v86, v84, v81
	v_mul_f32_e32 v87, v85, v82
	v_mul_f32_e32 v97, v96, v83
	v_fma_f32 v71, -v69, v86, v84
	v_fma_f32 v98, -v70, v87, v85
	;; [unrolled: 1-line block ×3, first 2 shown]
	v_fmac_f32_e32 v86, v71, v81
	v_fmac_f32_e32 v87, v98, v82
	v_mul_f32_e32 v71, 0x3e357c2c, v66
	v_fmac_f32_e32 v97, v99, v83
	v_fma_f32 v69, -v69, v86, v84
	v_fma_f32 v70, -v70, v87, v85
	v_fma_f32 v80, -v80, v97, v96
	v_div_fmas_f32 v69, v69, v81, v86
	s_mov_b32 vcc_lo, s4
	v_div_fmas_f32 v81, v70, v82, v87
	s_mov_b32 vcc_lo, s5
	v_fmamk_f32 v82, v66, 0xbe357c2c, v66
	v_div_fmas_f32 v80, v80, v83, v97
	v_mul_f32_e32 v70, 0x3ba77ef2, v66
	v_div_fixup_f32 v67, v69, v67, 0x3e42ba39
	v_div_fixup_f32 v68, v81, v68, 0x3fe46a42
	v_fmamk_f32 v66, v66, 0xbba77ef2, v82
	v_div_fixup_f32 v69, v80, v65, 0x40b0cf9e
                                        ; implicit-def: $vgpr65
.LBB0_95:
	s_andn2_saveexec_b32 s18, s6
	s_cbranch_execz .LBB0_97
; %bb.96:
	v_add_f32_e32 v67, 0xbe42ba39, v65
	v_mul_f32_e32 v68, 0xbfb8aa3b, v65
	v_add_f32_e32 v70, 0xbfe46a42, v65
	v_add_f32_e32 v80, 0xc0b0cf9e, v65
	s_mov_b32 s4, 0xc0ec7fab
	v_div_scale_f32 v69, null, v67, v67, 0x3e42ba39
	v_rndne_f32_e32 v81, v68
	v_fma_f32 v82, 0xbfb8aa3b, v65, -v68
	v_div_scale_f32 v83, null, v70, v70, 0x3fe46a42
	v_rcp_f32_e32 v71, v69
	v_sub_f32_e32 v68, v68, v81
	v_fmamk_f32 v82, v65, 0xb2a5705f, v82
	v_rcp_f32_e32 v86, v83
	v_div_scale_f32 v96, vcc_lo, 0x3e42ba39, v67, 0x3e42ba39
	v_div_scale_f32 v97, null, v80, v80, 0x40b0cf9e
	v_add_f32_e32 v68, v68, v82
	v_cvt_i32_f32_e32 v81, v81
	v_fma_f32 v87, -v69, v71, 1.0
	s_mov_b32 s5, 0xc293bec9
	v_fmaak_f32 v84, s4, v65, 0x43a0a8c0
	v_exp_f32_e32 v68, v68
	v_fma_f32 v98, -v83, v86, 1.0
	v_fmac_f32_e32 v71, v87, v71
	v_rcp_f32_e32 v87, v97
	v_div_scale_f32 v82, s4, 0x3fe46a42, v70, 0x3fe46a42
	v_fmac_f32_e32 v86, v98, v86
	v_mul_f32_e32 v99, v96, v71
	v_fmaak_f32 v85, s5, v65, 0x4543fb32
	v_div_scale_f32 v100, s5, 0x40b0cf9e, v80, 0x40b0cf9e
	v_ldexp_f32 v68, v68, v81
	v_fma_f32 v101, -v69, v99, v96
	v_fma_f32 v98, -v97, v87, 1.0
	v_cmp_nlt_f32_e64 s6, 0x42ce8ed0, v65
	v_mul_f32_e32 v81, v82, v86
	s_mov_b32 s19, 0x42760770
	v_fmac_f32_e32 v99, v101, v71
	v_fmac_f32_e32 v87, v98, v87
	v_cndmask_b32_e64 v68, 0, v68, s6
	s_mov_b32 s6, 0x3e1be9c5
	v_fmaak_f32 v84, v65, v84, 0xc579a564
	v_fma_f32 v69, -v69, v99, v96
	v_mul_f32_e32 v98, v100, v87
	v_fma_f32 v96, -v83, v81, v82
	v_fmaak_f32 v85, v65, v85, 0xc7171e49
	v_div_fmas_f32 v69, v69, v71, v99
	v_cmp_ngt_f32_e32 vcc_lo, 0xc2b17218, v65
	v_fma_f32 v71, -v97, v98, v100
	v_fmac_f32_e32 v81, v96, v86
	v_div_fixup_f32 v67, v69, v67, 0x3e42ba39
	v_cndmask_b32_e32 v99, 0x7f800000, v68, vcc_lo
	v_fmaak_f32 v68, s6, v65, 0xc104e7e9
	v_fmaak_f32 v69, s19, v65, 0xc5367ce7
	v_fmac_f32_e32 v98, v71, v87
	v_fma_f32 v82, -v83, v81, v82
	s_mov_b32 vcc_lo, s4
	v_fmaak_f32 v68, v65, v68, 0x4340fa35
	v_fmaak_f32 v69, v65, v69, 0x4714bf6e
	v_fma_f32 v71, -v97, v98, v100
	s_mov_b32 s6, 0xc383e013
	v_div_fmas_f32 v81, v82, v86, v81
	v_fmaak_f32 v68, v65, v68, 0xc4d1bc23
	v_mul_f32_e32 v69, v99, v69
	s_mov_b32 vcc_lo, s5
	v_fmaak_f32 v82, s6, v65, 0x462324de
	v_div_fmas_f32 v83, v71, v87, v98
	v_mul_f32_e32 v86, v99, v68
	v_fmamk_f32 v71, v66, 0x3e357c2c, v69
	v_div_fixup_f32 v68, v81, v70, 0x3fe46a42
	v_fmaak_f32 v65, v65, v82, 0xc7fa2f4a
	v_div_fixup_f32 v69, v83, v80, 0x40b0cf9e
	v_fmamk_f32 v70, v66, 0x3ba77ef2, v86
	v_sub_f32_e32 v66, v66, v71
	v_fmac_f32_e32 v67, v99, v84
	v_fmac_f32_e32 v68, v99, v85
	;; [unrolled: 1-line block ×3, first 2 shown]
	v_sub_f32_e32 v66, v66, v70
.LBB0_97:
	s_or_b32 exec_lo, exec_lo, s18
.LBB0_98:
	s_or_b32 exec_lo, exec_lo, s17
                                        ; implicit-def: $vgpr65
.LBB0_99:
	s_andn2_saveexec_b32 s6, s16
	s_cbranch_execz .LBB0_105
; %bb.100:
	v_mul_f32_e32 v71, 0x3dbbe852, v66
                                        ; implicit-def: $vgpr68
                                        ; implicit-def: $vgpr67
	s_mov_b32 s4, exec_lo
	v_cmpx_ngt_f32_e32 0x42200000, v65
	s_xor_b32 s5, exec_lo, s4
	s_cbranch_execz .LBB0_102
; %bb.101:
	v_add_f32_e32 v67, 0xbe8cee3d, v65
	v_add_f32_e32 v65, 0xc02e6238, v65
	v_fmamk_f32 v66, v66, 0xbdbbe852, v66
	v_div_scale_f32 v68, null, v67, v67, 0x3e8cee3d
	v_div_scale_f32 v69, null, v65, v65, 0x402e6238
	v_div_scale_f32 v83, vcc_lo, 0x3e8cee3d, v67, 0x3e8cee3d
	v_rcp_f32_e32 v70, v68
	v_rcp_f32_e32 v80, v69
	v_fma_f32 v81, -v68, v70, 1.0
	v_fma_f32 v82, -v69, v80, 1.0
	v_fmac_f32_e32 v70, v81, v70
	v_div_scale_f32 v81, s4, 0x402e6238, v65, 0x402e6238
	v_fmac_f32_e32 v80, v82, v80
	v_mul_f32_e32 v82, v83, v70
	v_mul_f32_e32 v84, v81, v80
	v_fma_f32 v85, -v68, v82, v83
	v_fma_f32 v86, -v69, v84, v81
	v_fmac_f32_e32 v82, v85, v70
	v_fmac_f32_e32 v84, v86, v80
	v_fma_f32 v68, -v68, v82, v83
	v_fma_f32 v69, -v69, v84, v81
	v_div_fmas_f32 v68, v68, v70, v82
	s_mov_b32 vcc_lo, s4
	v_div_fmas_f32 v69, v69, v80, v84
	v_div_fixup_f32 v67, v68, v67, 0x3e8cee3d
	v_div_fixup_f32 v68, v69, v65, 0x402e6238
                                        ; implicit-def: $vgpr65
.LBB0_102:
	s_andn2_saveexec_b32 s16, s5
	s_cbranch_execz .LBB0_104
; %bb.103:
	v_add_f32_e32 v67, 0xbe8cee3d, v65
	v_add_f32_e32 v68, 0xc02e6238, v65
	v_mul_f32_e32 v81, 0xbfb8aa3b, v65
	s_mov_b32 s5, 0x408efe8f
	s_mov_b32 s17, 0xbf6102b1
	v_div_scale_f32 v69, null, v67, v67, 0x3e8cee3d
	v_div_scale_f32 v70, null, v68, v68, 0x402e6238
	v_rndne_f32_e32 v83, v81
	v_rcp_f32_e32 v80, v69
	v_fma_f32 v84, 0xbfb8aa3b, v65, -v81
	v_rcp_f32_e32 v82, v70
	v_div_scale_f32 v86, vcc_lo, 0x3e8cee3d, v67, 0x3e8cee3d
	v_sub_f32_e32 v81, v81, v83
	v_fmamk_f32 v84, v65, 0xb2a5705f, v84
	v_cvt_i32_f32_e32 v83, v83
	s_mov_b32 s18, 0xc1149fe8
	v_fma_f32 v85, -v69, v80, 1.0
	v_add_f32_e32 v81, v81, v84
	v_fma_f32 v87, -v70, v82, 1.0
	v_fmac_f32_e32 v80, v85, v80
	v_div_scale_f32 v85, s4, 0x402e6238, v68, 0x402e6238
	v_fmac_f32_e32 v82, v87, v82
	v_exp_f32_e32 v81, v81
	v_mul_f32_e32 v84, v86, v80
	v_mul_f32_e32 v87, v85, v82
	v_fma_f32 v96, -v69, v84, v86
	v_fma_f32 v97, -v70, v87, v85
	v_ldexp_f32 v81, v81, v83
	v_fmac_f32_e32 v84, v96, v80
	v_fmaak_f32 v83, s5, v65, 0xc29bd9a2
	v_cmp_nlt_f32_e64 s5, 0x42ce8ed0, v65
	v_fmac_f32_e32 v87, v97, v82
	v_fma_f32 v69, -v69, v84, v86
	v_cndmask_b32_e64 v81, 0, v81, s5
	v_fma_f32 v70, -v70, v87, v85
	v_div_fmas_f32 v69, v69, v80, v84
	s_mov_b32 vcc_lo, s4
	v_div_fmas_f32 v70, v70, v82, v87
	v_cmp_ngt_f32_e32 vcc_lo, 0xc2b17218, v65
	v_div_fixup_f32 v67, v69, v67, 0x3e8cee3d
	v_div_fixup_f32 v68, v70, v68, 0x402e6238
	v_cndmask_b32_e32 v80, 0x7f800000, v81, vcc_lo
	v_fmaak_f32 v81, s17, v65, 0x412eca38
	v_fmaak_f32 v65, s18, v65, 0x42a220e4
	v_fmac_f32_e32 v71, v80, v83
	v_fmac_f32_e32 v67, v80, v81
	v_fmac_f32_e32 v68, v80, v65
	v_sub_f32_e32 v66, v66, v71
.LBB0_104:
	s_or_b32 exec_lo, exec_lo, s16
	v_mov_b32_e32 v70, 0
	v_mov_b32_e32 v69, 0
.LBB0_105:
	s_or_b32 exec_lo, exec_lo, s6
                                        ; implicit-def: $vgpr65
.LBB0_106:
	s_andn2_saveexec_b32 s4, s15
	s_cbranch_execz .LBB0_110
; %bb.107:
	v_mov_b32_e32 v70, 0
	v_mov_b32_e32 v67, 0
	s_mov_b32 s5, exec_lo
	v_cmpx_eq_u32_e32 0, v9
	s_cbranch_execz .LBB0_109
; %bb.108:
	v_add_f32_e32 v65, -0.5, v65
	v_div_scale_f32 v67, null, v65, v65, 0.5
	v_rcp_f32_e32 v68, v67
	v_fma_f32 v69, -v67, v68, 1.0
	v_fmac_f32_e32 v68, v69, v68
	v_div_scale_f32 v69, vcc_lo, 0.5, v65, 0.5
	v_mul_f32_e32 v71, v69, v68
	v_fma_f32 v80, -v67, v71, v69
	v_fmac_f32_e32 v71, v80, v68
	v_fma_f32 v67, -v67, v71, v69
	v_div_fmas_f32 v67, v67, v68, v71
	v_div_fixup_f32 v67, v67, v65, 0.5
.LBB0_109:
	s_or_b32 exec_lo, exec_lo, s5
	v_mov_b32_e32 v71, 0
	v_mov_b32_e32 v69, 0
	;; [unrolled: 1-line block ×3, first 2 shown]
.LBB0_110:
	s_or_b32 exec_lo, exec_lo, s4
                                        ; implicit-def: $vgpr65
.LBB0_111:
	s_andn2_saveexec_b32 s15, s7
	s_cbranch_execz .LBB0_129
; %bb.112:
	v_div_scale_f32 v66, null, v65, v65, 0x3e48f136
	v_div_scale_f32 v69, vcc_lo, 0x3e48f136, v65, 0x3e48f136
	v_rcp_f32_e32 v67, v66
	v_fma_f32 v68, -v66, v67, 1.0
	v_fmac_f32_e32 v67, v68, v67
	v_mul_f32_e32 v68, v69, v67
	v_fma_f32 v70, -v66, v68, v69
	v_fmac_f32_e32 v68, v70, v67
	v_fma_f32 v66, -v66, v68, v69
	v_div_fmas_f32 v66, v66, v67, v68
	v_div_scale_f32 v68, null, v65, v65, 0x3f490fdb
	v_div_fixup_f32 v66, v66, v65, 0x3e48f136
	v_rcp_f32_e32 v70, v68
	v_add_f32_e32 v66, 0xbefe708c, v66
	v_div_scale_f32 v67, null, v65, v65, v66
	v_fma_f32 v80, -v68, v70, 1.0
	v_div_scale_f32 v81, vcc_lo, v66, v65, v66
	v_rcp_f32_e32 v69, v67
	v_fmac_f32_e32 v70, v80, v70
	v_fma_f32 v71, -v67, v69, 1.0
	v_fmac_f32_e32 v69, v71, v69
	v_div_scale_f32 v71, s4, 0x3f490fdb, v65, 0x3f490fdb
	v_mul_f32_e32 v80, v81, v69
	v_mul_f32_e32 v82, v71, v70
	v_fma_f32 v83, -v67, v80, v81
	v_fma_f32 v84, -v68, v82, v71
	v_fmac_f32_e32 v80, v83, v69
	v_fmac_f32_e32 v82, v84, v70
	v_fma_f32 v67, -v67, v80, v81
	v_fma_f32 v68, -v68, v82, v71
	v_div_fmas_f32 v67, v67, v69, v80
	s_mov_b32 vcc_lo, s4
	v_div_fmas_f32 v68, v68, v70, v82
	v_div_fixup_f32 v66, v67, v65, v66
	v_div_fixup_f32 v68, v68, v65, 0x3f490fdb
	v_mul_f32_e32 v69, 0x4f800000, v68
	v_cmp_gt_f32_e32 vcc_lo, 0xf800000, v68
	v_cndmask_b32_e32 v68, v68, v69, vcc_lo
	v_mul_f32_e32 v69, 0xbfb8aa3b, v65
	v_sqrt_f32_e32 v70, v68
	v_rndne_f32_e32 v71, v69
	v_fma_f32 v80, 0xbfb8aa3b, v65, -v69
	v_sub_f32_e32 v69, v69, v71
	v_fmamk_f32 v80, v65, 0xb2a5705f, v80
	v_cvt_i32_f32_e32 v71, v71
	v_add_nc_u32_e32 v81, -1, v70
	v_add_f32_e32 v69, v69, v80
	v_add_nc_u32_e32 v80, 1, v70
	v_fma_f32 v82, -v81, v70, v68
	v_exp_f32_e32 v69, v69
	v_fma_f32 v83, -v80, v70, v68
	v_cmp_ge_f32_e64 s4, 0, v82
	v_add_f32_e32 v82, v65, v65
	v_cndmask_b32_e64 v70, v70, v81, s4
	v_cmp_lt_f32_e64 s4, 0, v83
	v_ldexp_f32 v69, v69, v71
	v_cndmask_b32_e64 v70, v70, v80, s4
	v_cmp_nlt_f32_e64 s4, 0x42ce8ed0, v65
	v_mul_f32_e32 v71, 0x37800000, v70
	v_cndmask_b32_e64 v69, 0, v69, s4
	s_mov_b32 s4, exec_lo
	v_cndmask_b32_e32 v67, v70, v71, vcc_lo
	v_cmp_ngt_f32_e32 vcc_lo, 0xc2b17218, v65
	v_cndmask_b32_e32 v81, 0x7f800000, v69, vcc_lo
	v_cmp_class_f32_e64 vcc_lo, v68, 0x260
	v_add_f32_e32 v69, 0xb87c50a3, v66
	v_cndmask_b32_e32 v66, v67, v68, vcc_lo
	v_fmac_f32_e32 v66, v81, v69
	v_sub_f32_e32 v67, v66, v81
	v_div_scale_f32 v68, null, v82, v82, v67
	v_div_scale_f32 v71, vcc_lo, v67, v82, v67
	v_rcp_f32_e32 v69, v68
	v_fma_f32 v70, -v68, v69, 1.0
	v_fmac_f32_e32 v69, v70, v69
	v_mul_f32_e32 v70, v71, v69
	v_fma_f32 v80, -v68, v70, v71
	v_fmac_f32_e32 v70, v80, v69
	v_fma_f32 v68, -v68, v70, v71
                                        ; implicit-def: $vgpr71
	v_div_fmas_f32 v68, v68, v69, v70
                                        ; implicit-def: $vgpr70
                                        ; implicit-def: $vgpr69
	v_div_fixup_f32 v80, v68, v82, v67
                                        ; implicit-def: $vgpr68
                                        ; implicit-def: $vgpr67
	v_cmpx_lt_i32_e32 0, v9
	s_xor_b32 s16, exec_lo, s4
	s_cbranch_execz .LBB0_124
; %bb.113:
                                        ; implicit-def: $vgpr70
                                        ; implicit-def: $vgpr71
                                        ; implicit-def: $vgpr69
                                        ; implicit-def: $vgpr68
                                        ; implicit-def: $vgpr67
	s_mov_b32 s4, exec_lo
	v_cmpx_lt_i32_e32 1, v9
	s_xor_b32 s17, exec_lo, s4
	s_cbranch_execz .LBB0_121
; %bb.114:
	v_mov_b32_e32 v70, 0
	v_mov_b32_e32 v71, 0
	;; [unrolled: 1-line block ×5, first 2 shown]
	s_mov_b32 s18, exec_lo
	v_cmpx_eq_u32_e32 2, v9
	s_cbranch_execz .LBB0_120
; %bb.115:
	v_add_f32_e32 v70, 0xbe42ba39, v65
	v_add_f32_e32 v69, 0xbfe46a42, v65
                                        ; implicit-def: $vgpr68
                                        ; implicit-def: $vgpr67
                                        ; implicit-def: $vgpr71
	s_mov_b32 s4, exec_lo
	v_cmpx_ngt_f32_e32 0x41a00000, v65
	s_xor_b32 s19, exec_lo, s4
	s_cbranch_execz .LBB0_117
; %bb.116:
	v_div_scale_f32 v67, null, v65, v65, 0xc4251610
	v_div_scale_f32 v68, null, v70, v70, 0x3e42ba39
	;; [unrolled: 1-line block ×3, first 2 shown]
	v_rcp_f32_e32 v71, v67
	v_rcp_f32_e32 v84, v68
	v_div_scale_f32 v83, vcc_lo, 0xc4251610, v65, 0xc4251610
	v_rcp_f32_e32 v96, v85
	v_div_scale_f32 v86, s4, 0x3e42ba39, v70, 0x3e42ba39
	v_div_scale_f32 v99, null, v65, v65, 0xc663b5e1
	v_div_scale_f32 v97, s5, 0xc5c528bb, v65, 0xc5c528bb
	v_fma_f32 v87, -v67, v71, 1.0
	v_fma_f32 v98, -v68, v84, 1.0
	s_mov_b32 s6, 0xba026eca
	v_fma_f32 v100, -v85, v96, 1.0
	v_fmaak_f32 v102, s6, v65, 0xbd4d2e47
	v_fmac_f32_e32 v71, v87, v71
	v_div_scale_f32 v87, null, v69, v69, 0x3fe46a42
	v_fmac_f32_e32 v84, v98, v84
	v_fmac_f32_e32 v96, v100, v96
	v_mul_f32_e32 v98, v83, v71
	v_rcp_f32_e32 v101, v87
	v_rcp_f32_e32 v100, v99
	v_mul_f32_e32 v103, v86, v84
	s_mov_b32 s20, 0xbb92df54
	v_fma_f32 v112, -v67, v98, v83
	v_fmaak_f32 v102, v65, v102, 0x3fa7ce91
	v_fma_f32 v113, -v68, v103, v86
	v_fmac_f32_e32 v98, v112, v71
	v_mul_f32_e32 v112, v97, v96
	v_fma_f32 v114, -v87, v101, 1.0
	v_fmac_f32_e32 v103, v113, v84
	v_fma_f32 v113, -v99, v100, 1.0
	v_fma_f32 v67, -v67, v98, v83
	v_fma_f32 v83, -v85, v112, v97
	v_fmac_f32_e32 v101, v114, v101
	v_fma_f32 v68, -v68, v103, v86
	v_fmac_f32_e32 v100, v113, v100
	v_div_fmas_f32 v67, v67, v71, v98
	v_div_scale_f32 v71, s6, 0x3fe46a42, v69, 0x3fe46a42
	v_div_scale_f32 v98, s7, 0xc663b5e1, v65, 0xc663b5e1
	v_fmaak_f32 v86, s20, v65, 0xbf047292
	v_fmac_f32_e32 v112, v83, v96
	v_mul_f32_e32 v83, v71, v101
	v_mul_f32_e32 v113, v98, v100
	s_mov_b32 vcc_lo, s4
	s_mov_b32 s4, 0xbc62b400
	v_div_fmas_f32 v68, v68, v84, v103
	v_fmaak_f32 v84, v65, v86, 0x4135e7dc
	v_fma_f32 v86, -v87, v83, v71
	v_fma_f32 v85, -v85, v112, v97
	;; [unrolled: 1-line block ×3, first 2 shown]
	s_mov_b32 vcc_lo, s5
	v_fmaak_f32 v102, v65, v102, 0xc196ab4c
	v_fmac_f32_e32 v83, v86, v101
	v_div_fmas_f32 v85, v85, v96, v112
	v_fmac_f32_e32 v113, v97, v100
	v_fmaak_f32 v86, s4, v65, 0xbfe2ef83
	s_mov_b32 vcc_lo, s6
	v_fma_f32 v71, -v87, v83, v71
	v_div_fixup_f32 v67, v67, v65, 0xc4251610
	v_fma_f32 v87, -v99, v113, v98
	v_fmaak_f32 v84, v65, v84, 0xc3256d28
	v_div_fixup_f32 v85, v85, v65, 0xc5c528bb
	v_div_fmas_f32 v71, v71, v101, v83
	s_mov_b32 vcc_lo, s7
	v_fmaak_f32 v83, v65, v86, 0x418ae947
	v_div_fmas_f32 v86, v87, v100, v113
	v_fmac_f32_e32 v67, v65, v102
	v_fmac_f32_e32 v85, v65, v84
	v_fmaak_f32 v83, v65, v83, 0xc3b2cebc
	v_div_fixup_f32 v84, v86, v65, 0xc663b5e1
	v_add_f32_e32 v86, 0x4324ee74, v67
	v_div_fixup_f32 v67, v68, v70, 0x3e42ba39
	v_add_f32_e32 v70, 0x44be4a2a, v85
	v_div_fixup_f32 v68, v71, v69, 0x3fe46a42
	v_fmac_f32_e32 v84, v65, v83
                                        ; implicit-def: $vgpr69
	v_fmac_f32_e32 v67, v81, v86
	v_fmac_f32_e32 v68, v81, v70
	v_add_f32_e32 v71, 0x4528a517, v84
                                        ; implicit-def: $vgpr70
.LBB0_117:
	s_andn2_saveexec_b32 s6, s19
	s_cbranch_execz .LBB0_119
; %bb.118:
	v_div_scale_f32 v67, null, v65, v65, 0xc69a624f
	v_div_scale_f32 v83, vcc_lo, 0xc69a624f, v65, 0xc69a624f
	v_div_scale_f32 v87, s4, 0x3e42ba39, v70, 0x3e42ba39
	v_rcp_f32_e32 v68, v67
	v_div_scale_f32 v96, s5, 0xca32054d, v65, 0xca32054d
	v_fma_f32 v71, -v67, v68, 1.0
	v_fmac_f32_e32 v68, v71, v68
	v_mul_f32_e32 v71, v83, v68
	v_fma_f32 v84, -v67, v71, v83
	v_fmac_f32_e32 v71, v84, v68
	v_fma_f32 v67, -v67, v71, v83
	v_div_scale_f32 v83, null, v65, v65, 0xca32054d
	v_div_fmas_f32 v67, v67, v68, v71
	v_div_scale_f32 v68, null, v70, v70, 0x3e42ba39
	v_rcp_f32_e32 v86, v83
	v_div_fixup_f32 v67, v67, v65, 0xc69a624f
	v_rcp_f32_e32 v85, v68
	v_add_f32_e32 v67, 0x461981a8, v67
	v_fma_f32 v99, -v83, v86, 1.0
	v_div_scale_f32 v71, null, v65, v65, v67
	v_fma_f32 v98, -v68, v85, 1.0
	v_div_scale_f32 v100, vcc_lo, v67, v65, v67
	v_rcp_f32_e32 v84, v71
	v_fmac_f32_e32 v86, v99, v86
	v_fmac_f32_e32 v85, v98, v85
	v_mul_f32_e32 v99, v96, v86
	v_mul_f32_e32 v98, v87, v85
	v_fma_f32 v97, -v71, v84, 1.0
	v_fma_f32 v103, -v83, v99, v96
	v_fma_f32 v102, -v68, v98, v87
	v_fmac_f32_e32 v84, v97, v84
	v_fmac_f32_e32 v99, v103, v86
	;; [unrolled: 1-line block ×3, first 2 shown]
	v_mul_f32_e32 v97, v100, v84
	v_fma_f32 v83, -v83, v99, v96
	v_fma_f32 v68, -v68, v98, v87
	;; [unrolled: 1-line block ×3, first 2 shown]
	v_fmac_f32_e32 v97, v101, v84
	v_fma_f32 v71, -v71, v97, v100
	v_div_fmas_f32 v71, v71, v84, v97
	s_mov_b32 vcc_lo, s4
	v_div_fmas_f32 v68, v68, v85, v98
	s_mov_b32 vcc_lo, s5
	v_div_scale_f32 v98, s4, 0x3fe46a42, v69, 0x3fe46a42
	v_div_fmas_f32 v83, v83, v86, v99
	v_div_scale_f32 v99, s5, 0xc8396161, v65, 0xc8396161
	v_div_fixup_f32 v67, v71, v65, v67
	v_div_fixup_f32 v83, v83, v65, 0xca32054d
	v_add_f32_e32 v83, 0x49ac46f8, v83
	v_div_scale_f32 v84, null, v65, v65, v83
	v_div_scale_f32 v87, vcc_lo, v83, v65, v83
	v_rcp_f32_e32 v85, v84
	v_fma_f32 v86, -v84, v85, 1.0
	v_fmac_f32_e32 v85, v86, v85
	v_mul_f32_e32 v86, v87, v85
	v_fma_f32 v96, -v84, v86, v87
	v_fmac_f32_e32 v86, v96, v85
	v_fma_f32 v84, -v84, v86, v87
	v_div_fmas_f32 v84, v84, v85, v86
	v_div_scale_f32 v86, null, v65, v65, 0xc8396161
	v_div_fixup_f32 v83, v84, v65, v83
	v_div_scale_f32 v84, null, v69, v69, 0x3fe46a42
	v_rcp_f32_e32 v97, v86
	v_add_f32_e32 v83, 0xc88e598b, v83
	v_rcp_f32_e32 v96, v84
	v_div_scale_f32 v85, null, v65, v65, v83
	v_div_scale_f32 v103, vcc_lo, v83, v65, v83
	v_fma_f32 v102, -v86, v97, 1.0
	v_rcp_f32_e32 v87, v85
	v_fma_f32 v101, -v84, v96, 1.0
	v_fmac_f32_e32 v97, v102, v97
	v_fmac_f32_e32 v96, v101, v96
	v_mul_f32_e32 v102, v99, v97
	v_fma_f32 v100, -v85, v87, 1.0
	v_mul_f32_e32 v101, v98, v96
	v_fma_f32 v114, -v86, v102, v99
	v_fmac_f32_e32 v87, v100, v87
	v_fma_f32 v113, -v84, v101, v98
	v_fmac_f32_e32 v102, v114, v97
	v_mul_f32_e32 v100, v103, v87
	v_fmac_f32_e32 v101, v113, v96
	v_fma_f32 v86, -v86, v102, v99
	v_fma_f32 v112, -v85, v100, v103
	;; [unrolled: 1-line block ×3, first 2 shown]
	v_fmac_f32_e32 v100, v112, v87
	v_fma_f32 v85, -v85, v100, v103
	v_div_fmas_f32 v85, v85, v87, v100
	s_mov_b32 vcc_lo, s4
	s_mov_b32 s4, 0xb62341a3
	v_div_fmas_f32 v84, v84, v96, v101
	s_mov_b32 vcc_lo, s5
	v_div_fixup_f32 v83, v85, v65, v83
	v_div_fmas_f32 v86, v86, v97, v102
	v_fmaak_f32 v97, s4, v65, 0x39bba4b6
	s_mov_b32 s4, 0xb989b133
	v_fmaak_f32 v99, s4, v65, 0x3d0f0702
	v_div_fixup_f32 v86, v86, v65, 0xc8396161
	v_fmaak_f32 v97, v65, v97, 0xbcbfc8ef
	s_mov_b32 s4, 0x38c36ca9
	v_fmaak_f32 v99, v65, v99, 0xc045f9e0
	v_add_f32_e32 v86, 0x4747cdd7, v86
	v_fmaak_f32 v97, v65, v97, 0x3f480b7a
	v_fmaak_f32 v102, s4, v65, 0xbceb226e
	;; [unrolled: 1-line block ×3, first 2 shown]
	v_div_scale_f32 v87, null, v65, v65, v86
	v_fmaak_f32 v97, v65, v97, 0xc18a913f
	v_fmaak_f32 v71, v65, v99, 0xc513e98b
	v_rcp_f32_e32 v96, v87
	v_fmaak_f32 v97, v65, v97, 0x43738477
	v_fmac_f32_e32 v83, v65, v71
	v_fmac_f32_e32 v67, v65, v97
	v_fma_f32 v98, -v87, v96, 1.0
	v_fmac_f32_e32 v96, v98, v96
	v_div_scale_f32 v98, vcc_lo, v86, v65, v86
	v_mul_f32_e32 v100, v98, v96
	v_fma_f32 v101, -v87, v100, v98
	v_fmac_f32_e32 v100, v101, v96
	v_fmaak_f32 v101, v65, v102, 0xbf4893b3
	v_fma_f32 v87, -v87, v100, v98
	v_fmaak_f32 v85, v65, v101, 0xc193789b
	v_div_fmas_f32 v87, v87, v96, v100
	v_fmaak_f32 v71, v65, v85, 0x43ca7f94
	v_div_fixup_f32 v85, v87, v65, v86
	v_add_f32_e32 v86, 0xc501fb4f, v67
	v_div_fixup_f32 v67, v68, v70, 0x3e42ba39
	v_add_f32_e32 v70, 0x4702f04a, v83
	v_div_fixup_f32 v68, v84, v69, 0x3fe46a42
	v_fmac_f32_e32 v85, v65, v71
	v_fmac_f32_e32 v67, v81, v86
	;; [unrolled: 1-line block ×3, first 2 shown]
	v_add_f32_e32 v71, 0xc5d70baa, v85
.LBB0_119:
	s_or_b32 exec_lo, exec_lo, s6
	v_fma_f32 v69, 2.0, v80, v80
	v_add_f32_e32 v65, 0xc0b0cf9e, v65
	v_sub_f32_e32 v70, v69, v81
	v_div_scale_f32 v83, null, v65, v65, 0x40b0cf9e
	v_div_scale_f32 v69, null, v82, v82, v70
	v_rcp_f32_e32 v85, v83
	v_div_scale_f32 v96, vcc_lo, v70, v82, v70
	v_rcp_f32_e32 v84, v69
	v_fma_f32 v87, -v83, v85, 1.0
	v_fma_f32 v86, -v69, v84, 1.0
	v_fmac_f32_e32 v85, v87, v85
	v_fmac_f32_e32 v84, v86, v84
	v_div_scale_f32 v86, s4, 0x40b0cf9e, v65, 0x40b0cf9e
	v_mul_f32_e32 v87, v96, v84
	v_mul_f32_e32 v97, v86, v85
	v_fma_f32 v98, -v69, v87, v96
	v_fma_f32 v99, -v83, v97, v86
	v_fmac_f32_e32 v87, v98, v84
	v_fmac_f32_e32 v97, v99, v85
	v_fma_f32 v69, -v69, v87, v96
	v_fma_f32 v83, -v83, v97, v86
	v_div_fmas_f32 v84, v69, v84, v87
	s_mov_b32 vcc_lo, s4
	v_div_fmas_f32 v69, v83, v85, v97
	v_div_fixup_f32 v70, v84, v82, v70
	v_div_fixup_f32 v69, v69, v65, 0x40b0cf9e
	v_add_f32_e32 v65, 1.0, v67
	v_fmac_f32_e32 v69, v81, v71
	v_add_f32_e32 v71, 1.0, v68
	v_div_scale_f32 v81, null, v65, v65, v67
	v_div_scale_f32 v99, vcc_lo, v67, v65, v67
	v_add_f32_e32 v83, 1.0, v69
	v_div_scale_f32 v85, null, v71, v71, v68
	v_rcp_f32_e32 v86, v81
	v_div_scale_f32 v87, null, v83, v83, v69
	v_rcp_f32_e32 v96, v85
	v_div_scale_f32 v102, s5, v69, v83, v69
	v_rcp_f32_e32 v97, v87
	v_fma_f32 v98, -v81, v86, 1.0
	v_fma_f32 v100, -v85, v96, 1.0
	v_fmac_f32_e32 v86, v98, v86
	v_div_scale_f32 v98, s4, v68, v71, v68
	v_fma_f32 v101, -v87, v97, 1.0
	v_fmac_f32_e32 v96, v100, v96
	v_mul_f32_e32 v100, v99, v86
	v_fmac_f32_e32 v97, v101, v97
	v_mul_f32_e32 v101, v98, v96
	v_fma_f32 v103, -v81, v100, v99
	v_mul_f32_e32 v112, v102, v97
	v_fma_f32 v113, -v85, v101, v98
	v_fmac_f32_e32 v100, v103, v86
	v_fma_f32 v103, -v87, v112, v102
	v_fmac_f32_e32 v101, v113, v96
	;; [unrolled: 2-line block ×3, first 2 shown]
	v_fma_f32 v85, -v85, v101, v98
	v_div_fmas_f32 v81, v81, v86, v100
	s_mov_b32 vcc_lo, s4
	v_fma_f32 v86, -v87, v112, v102
	v_div_fmas_f32 v85, v85, v96, v101
	s_mov_b32 vcc_lo, s5
	v_div_fixup_f32 v65, v81, v65, v67
	v_div_fmas_f32 v86, v86, v97, v112
	v_div_fixup_f32 v71, v85, v71, v68
	v_fma_f32 v70, -v80, v65, v70
	v_fma_f32 v80, -v66, v65, v80
	v_div_fixup_f32 v81, v86, v83, v69
	v_fma_f32 v84, -v71, v80, v70
	v_sub_f32_e32 v82, v81, v71
	v_sub_f32_e32 v83, v81, v65
	;; [unrolled: 1-line block ×3, first 2 shown]
	v_fma_f32 v70, v81, v80, -v70
	v_mul_f32_e32 v83, v82, v83
	v_mul_f32_e32 v65, v65, v82
	v_div_scale_f32 v71, null, v83, v83, v84
	v_div_scale_f32 v80, null, v65, v65, v70
	v_div_scale_f32 v87, vcc_lo, v84, v83, v84
	v_rcp_f32_e32 v81, v71
	v_rcp_f32_e32 v82, v80
	v_fma_f32 v85, -v71, v81, 1.0
	v_fma_f32 v86, -v80, v82, 1.0
	v_fmac_f32_e32 v81, v85, v81
	v_div_scale_f32 v85, s4, v70, v65, v70
	v_fmac_f32_e32 v82, v86, v82
	v_mul_f32_e32 v86, v87, v81
	v_mul_f32_e32 v96, v85, v82
	v_fma_f32 v97, -v71, v86, v87
	v_fma_f32 v98, -v80, v96, v85
	v_fmac_f32_e32 v86, v97, v81
	v_fmac_f32_e32 v96, v98, v82
	v_fma_f32 v71, -v71, v86, v87
	v_fma_f32 v80, -v80, v96, v85
	v_div_fmas_f32 v81, v71, v81, v86
	s_mov_b32 vcc_lo, s4
	v_div_fmas_f32 v71, v80, v82, v96
	v_div_fixup_f32 v71, v71, v65, v70
	v_div_fixup_f32 v70, v81, v83, v84
	v_sub_f32_e32 v65, v66, v71
	v_sub_f32_e32 v66, v65, v70
.LBB0_120:
	s_or_b32 exec_lo, exec_lo, s18
                                        ; implicit-def: $vgpr65
                                        ; implicit-def: $vgpr81
                                        ; implicit-def: $vgpr80
.LBB0_121:
	s_andn2_saveexec_b32 s6, s17
	s_cbranch_execz .LBB0_123
; %bb.122:
	v_div_scale_f32 v67, null, v65, v65, 0xc23e4bfd
	v_div_scale_f32 v70, vcc_lo, 0xc23e4bfd, v65, 0xc23e4bfd
	v_div_scale_f32 v85, s4, 0xc307d4bd, v65, 0xc307d4bd
	v_rcp_f32_e32 v68, v67
	v_fma_f32 v69, -v67, v68, 1.0
	v_fmac_f32_e32 v68, v69, v68
	v_mul_f32_e32 v69, v70, v68
	v_fma_f32 v71, -v67, v69, v70
	v_fmac_f32_e32 v69, v71, v68
	v_fma_f32 v67, -v67, v69, v70
	v_div_fmas_f32 v67, v67, v68, v69
	v_add_f32_e32 v68, 0xbe8cee3d, v65
	v_div_scale_f32 v69, null, v65, v65, 0xc307d4bd
	v_div_fixup_f32 v67, v67, v65, 0xc23e4bfd
	v_div_scale_f32 v71, null, v68, v68, 0x3e8cee3d
	v_rcp_f32_e32 v83, v69
	v_div_scale_f32 v86, s5, 0x3e8cee3d, v68, 0x3e8cee3d
	v_add_f32_e32 v67, 0x41135c5f, v67
	v_rcp_f32_e32 v84, v71
	v_div_scale_f32 v70, null, v65, v65, v67
	v_fma_f32 v96, -v69, v83, 1.0
	v_div_scale_f32 v98, vcc_lo, v67, v65, v67
	v_rcp_f32_e32 v82, v70
	v_fma_f32 v97, -v71, v84, 1.0
	v_fmac_f32_e32 v83, v96, v83
	v_fmac_f32_e32 v84, v97, v84
	v_mul_f32_e32 v96, v85, v83
	v_fma_f32 v87, -v70, v82, 1.0
	v_mul_f32_e32 v97, v86, v84
	v_fma_f32 v100, -v69, v96, v85
	v_fmac_f32_e32 v82, v87, v82
	v_fma_f32 v101, -v71, v97, v86
	v_fmac_f32_e32 v96, v100, v83
	v_mul_f32_e32 v87, v98, v82
	v_fmac_f32_e32 v97, v101, v84
	v_fma_f32 v69, -v69, v96, v85
	v_fma_f32 v99, -v70, v87, v98
	;; [unrolled: 1-line block ×3, first 2 shown]
	v_fmac_f32_e32 v87, v99, v82
	v_fma_f32 v70, -v70, v87, v98
	v_div_fmas_f32 v70, v70, v82, v87
	s_mov_b32 vcc_lo, s5
	s_mov_b32 s5, 0xb59a3989
	v_div_fmas_f32 v71, v71, v84, v97
	s_mov_b32 vcc_lo, s4
	v_fmaak_f32 v99, s5, v65, 0x39388d8e
	v_div_fmas_f32 v69, v69, v83, v96
	v_add_f32_e32 v83, 0xc02e6238, v65
	s_mov_b32 s5, 0x39bf52f4
	v_div_fixup_f32 v70, v70, v65, v67
	v_fmaak_f32 v101, s5, v65, 0xbdc708fb
	v_div_fixup_f32 v69, v69, v65, 0xc307d4bd
	v_div_scale_f32 v85, null, v83, v83, 0x402e6238
	v_div_scale_f32 v98, s4, 0x402e6238, v83, 0x402e6238
	v_add_f32_e32 v69, 0xc2ad60db, v69
	v_rcp_f32_e32 v86, v85
	v_fmaak_f32 v67, v65, v101, 0xc080ec6f
	v_div_scale_f32 v82, null, v65, v65, v69
	v_div_scale_f32 v96, vcc_lo, v69, v65, v69
	v_rcp_f32_e32 v84, v82
	v_fma_f32 v87, -v82, v84, 1.0
	v_fmac_f32_e32 v84, v87, v84
	v_fma_f32 v87, -v85, v86, 1.0
	v_mul_f32_e32 v97, v96, v84
	v_fmac_f32_e32 v86, v87, v86
	v_fma_f32 v87, -v82, v97, v96
	v_mul_f32_e32 v100, v98, v86
	v_fmac_f32_e32 v97, v87, v84
	v_fmaak_f32 v87, v65, v99, 0xbc8ce3aa
	v_fma_f32 v99, -v85, v100, v98
	v_fma_f32 v82, -v82, v97, v96
	v_fmaak_f32 v87, v65, v87, 0xbe0c9671
	v_fmac_f32_e32 v100, v99, v86
	v_div_fmas_f32 v82, v82, v84, v97
	s_mov_b32 vcc_lo, s4
	v_fma_f32 v84, -v85, v100, v98
	v_fmac_f32_e32 v70, v65, v87
	v_div_fixup_f32 v69, v82, v65, v69
	v_div_fmas_f32 v82, v84, v86, v100
	v_fmac_f32_e32 v69, v65, v67
	v_div_fixup_f32 v67, v71, v68, 0x3e8cee3d
	v_add_f32_e32 v65, 0xbcbd4d2c, v70
	v_div_fixup_f32 v68, v82, v83, 0x402e6238
	v_sub_f32_e32 v70, v80, v66
	v_add_f32_e32 v69, 0x403eba2b, v69
	v_fmac_f32_e32 v67, v81, v65
	v_fmac_f32_e32 v68, v81, v69
	;; [unrolled: 1-line block ×3, first 2 shown]
	v_add_f32_e32 v65, 1.0, v68
	v_sub_f32_e32 v69, v68, v67
	v_mul_f32_e32 v65, v65, v80
	v_div_scale_f32 v70, null, v69, v69, v65
	v_div_scale_f32 v81, vcc_lo, v65, v69, v65
	v_rcp_f32_e32 v71, v70
	v_fma_f32 v80, -v70, v71, 1.0
	v_fmac_f32_e32 v71, v80, v71
	v_mul_f32_e32 v80, v81, v71
	v_fma_f32 v82, -v70, v80, v81
	v_fmac_f32_e32 v80, v82, v71
	v_fma_f32 v70, -v70, v80, v81
	v_div_fmas_f32 v70, v70, v71, v80
	v_div_fixup_f32 v71, v70, v69, v65
	v_mov_b32_e32 v70, 0
	v_mov_b32_e32 v69, 0
	v_sub_f32_e32 v66, v66, v71
.LBB0_123:
	s_or_b32 exec_lo, exec_lo, s6
                                        ; implicit-def: $vgpr80
.LBB0_124:
	s_andn2_saveexec_b32 s4, s16
	s_cbranch_execz .LBB0_128
; %bb.125:
	v_mov_b32_e32 v70, 0
	v_mov_b32_e32 v67, 0
	s_mov_b32 s5, exec_lo
	v_cmpx_eq_u32_e32 0, v9
	s_cbranch_execz .LBB0_127
; %bb.126:
	v_sub_f32_e32 v65, v66, v80
	v_div_scale_f32 v67, null, v65, v65, v80
	v_rcp_f32_e32 v68, v67
	v_fma_f32 v69, -v67, v68, 1.0
	v_fmac_f32_e32 v68, v69, v68
	v_div_scale_f32 v69, vcc_lo, v80, v65, v80
	v_mul_f32_e32 v71, v69, v68
	v_fma_f32 v81, -v67, v71, v69
	v_fmac_f32_e32 v71, v81, v68
	v_fma_f32 v67, -v67, v71, v69
	v_div_fmas_f32 v67, v67, v68, v71
	v_div_fixup_f32 v67, v67, v65, v80
.LBB0_127:
	s_or_b32 exec_lo, exec_lo, s5
	v_mov_b32_e32 v71, 0
	v_mov_b32_e32 v69, 0
	v_mov_b32_e32 v68, 0
.LBB0_128:
	s_or_b32 exec_lo, exec_lo, s4
.LBB0_129:
	s_or_b32 exec_lo, exec_lo, s15
                                        ; implicit-def: $vgpr65
.LBB0_130:
	s_andn2_saveexec_b32 s7, s14
	s_cbranch_execz .LBB0_144
; %bb.131:
	v_div_scale_f32 v66, null, v65, v65, 0xbe405aee
	v_div_scale_f32 v69, vcc_lo, 0xbe405aee, v65, 0xbe405aee
	v_rcp_f32_e32 v67, v66
	v_fma_f32 v68, -v66, v67, 1.0
	v_fmac_f32_e32 v67, v68, v67
	v_mul_f32_e32 v68, v69, v67
	v_fma_f32 v70, -v66, v68, v69
	v_fmac_f32_e32 v68, v70, v67
	v_fma_f32 v66, -v66, v68, v69
	v_div_fmas_f32 v66, v66, v67, v68
	v_div_fixup_f32 v66, v66, v65, 0xbe405aee
	v_add_f32_e32 v66, 0x3e6b6fc1, v66
	v_div_scale_f32 v67, null, v65, v65, v66
	v_div_scale_f32 v70, vcc_lo, v66, v65, v66
	v_rcp_f32_e32 v68, v67
	v_fma_f32 v69, -v67, v68, 1.0
	v_fmac_f32_e32 v68, v69, v68
	v_mul_f32_e32 v69, v70, v68
	v_fma_f32 v71, -v67, v69, v70
	v_fmac_f32_e32 v69, v71, v68
	v_fma_f32 v67, -v67, v69, v70
	v_div_fmas_f32 v67, v67, v68, v69
	v_div_scale_f32 v68, null, v65, v65, 0x3f490fdb
	v_div_fixup_f32 v66, v67, v65, v66
	v_rcp_f32_e32 v70, v68
	v_add_f32_e32 v66, 0xbeff74bd, v66
	v_div_scale_f32 v67, null, v65, v65, v66
	v_fma_f32 v80, -v68, v70, 1.0
	v_div_scale_f32 v81, vcc_lo, v66, v65, v66
	v_rcp_f32_e32 v69, v67
	v_fmac_f32_e32 v70, v80, v70
	v_fma_f32 v71, -v67, v69, 1.0
	v_fmac_f32_e32 v69, v71, v69
	v_div_scale_f32 v71, s4, 0x3f490fdb, v65, 0x3f490fdb
	v_mul_f32_e32 v80, v81, v69
	v_mul_f32_e32 v82, v71, v70
	v_fma_f32 v83, -v67, v80, v81
	v_fma_f32 v84, -v68, v82, v71
	v_fmac_f32_e32 v80, v83, v69
	v_fmac_f32_e32 v82, v84, v70
	v_fma_f32 v67, -v67, v80, v81
	v_fma_f32 v68, -v68, v82, v71
	v_div_fmas_f32 v67, v67, v69, v80
	s_mov_b32 vcc_lo, s4
	v_div_fmas_f32 v68, v68, v70, v82
	v_div_fixup_f32 v66, v67, v65, v66
	v_div_fixup_f32 v68, v68, v65, 0x3f490fdb
	v_mul_f32_e32 v69, 0x4f800000, v68
	v_cmp_gt_f32_e32 vcc_lo, 0xf800000, v68
	v_cndmask_b32_e32 v68, v68, v69, vcc_lo
	v_mul_f32_e32 v69, 0xbfb8aa3b, v65
	v_sqrt_f32_e32 v70, v68
	v_rndne_f32_e32 v71, v69
	v_fma_f32 v80, 0xbfb8aa3b, v65, -v69
	v_sub_f32_e32 v69, v69, v71
	v_fmamk_f32 v80, v65, 0xb2a5705f, v80
	v_cvt_i32_f32_e32 v71, v71
	v_add_nc_u32_e32 v81, -1, v70
	v_add_f32_e32 v69, v69, v80
	v_add_nc_u32_e32 v80, 1, v70
	v_fma_f32 v82, -v81, v70, v68
	v_exp_f32_e32 v69, v69
	v_fma_f32 v83, -v80, v70, v68
	v_cmp_ge_f32_e64 s4, 0, v82
	v_add_f32_e32 v82, v65, v65
	v_cndmask_b32_e64 v70, v70, v81, s4
	v_cmp_lt_f32_e64 s4, 0, v83
	v_ldexp_f32 v69, v69, v71
	v_cndmask_b32_e64 v70, v70, v80, s4
	v_cmp_nlt_f32_e64 s4, 0x42ce8ed0, v65
	v_mul_f32_e32 v71, 0x37800000, v70
	v_cndmask_b32_e64 v69, 0, v69, s4
	s_mov_b32 s4, exec_lo
	v_cndmask_b32_e32 v67, v70, v71, vcc_lo
	v_cmp_ngt_f32_e32 vcc_lo, 0xc2b17218, v65
	v_cndmask_b32_e32 v81, 0x7f800000, v69, vcc_lo
	v_cmp_class_f32_e64 vcc_lo, v68, 0x260
	v_add_f32_e32 v69, 0xb7b7d95a, v66
	v_cndmask_b32_e32 v66, v67, v68, vcc_lo
	v_fmac_f32_e32 v66, v81, v69
	v_sub_f32_e32 v67, v66, v81
	v_div_scale_f32 v68, null, v82, v82, v67
	v_div_scale_f32 v71, vcc_lo, v67, v82, v67
	v_rcp_f32_e32 v69, v68
	v_fma_f32 v70, -v68, v69, 1.0
	v_fmac_f32_e32 v69, v70, v69
	v_mul_f32_e32 v70, v71, v69
	v_fma_f32 v80, -v68, v70, v71
	v_fmac_f32_e32 v70, v80, v69
	v_fma_f32 v68, -v68, v70, v71
                                        ; implicit-def: $vgpr71
	v_div_fmas_f32 v68, v68, v69, v70
                                        ; implicit-def: $vgpr70
                                        ; implicit-def: $vgpr69
	v_div_fixup_f32 v80, v68, v82, v67
                                        ; implicit-def: $vgpr68
                                        ; implicit-def: $vgpr67
	v_cmpx_lt_i32_e32 0, v9
	s_xor_b32 s14, exec_lo, s4
	s_cbranch_execz .LBB0_139
; %bb.132:
                                        ; implicit-def: $vgpr70
                                        ; implicit-def: $vgpr71
                                        ; implicit-def: $vgpr69
                                        ; implicit-def: $vgpr68
                                        ; implicit-def: $vgpr67
	s_mov_b32 s4, exec_lo
	v_cmpx_lt_i32_e32 1, v9
	s_xor_b32 s15, exec_lo, s4
	s_cbranch_execz .LBB0_136
; %bb.133:
	v_mov_b32_e32 v70, 0
	v_mov_b32_e32 v71, 0
	;; [unrolled: 1-line block ×5, first 2 shown]
	s_mov_b32 s16, exec_lo
	v_cmpx_eq_u32_e32 2, v9
	s_cbranch_execz .LBB0_135
; %bb.134:
	v_add_f32_e32 v65, 0xc1480000, v65
	s_mov_b32 s4, 0x25fedf51
	s_mov_b32 s5, 0x27670864
	v_fma_f32 v70, 2.0, v80, v80
	v_fmaak_f32 v67, s4, v65, 0xa747bc7d
	v_fmaak_f32 v69, s5, v65, 0xa8f64f4f
	s_mov_b32 s4, 0x27f6d9a2
	v_sub_f32_e32 v70, v70, v81
	v_fmaak_f32 v68, s4, v65, 0xa8430508
	v_fmaak_f32 v67, v65, v67, 0xa937ed9d
	;; [unrolled: 1-line block ×3, first 2 shown]
	v_div_scale_f32 v71, null, v82, v82, v70
	v_fmaak_f32 v68, v65, v68, 0xab717b68
	v_fmaak_f32 v67, v65, v67, 0x2b176e28
	;; [unrolled: 1-line block ×3, first 2 shown]
	v_rcp_f32_e32 v81, v71
	v_div_scale_f32 v87, vcc_lo, v70, v82, v70
	v_fmaak_f32 v68, v65, v68, 0x2ce9b5e5
	v_fmaak_f32 v67, v65, v67, 0x2c0470c6
	;; [unrolled: 1-line block ×6, first 2 shown]
	v_fma_f32 v84, -v71, v81, 1.0
	v_fmaak_f32 v68, v65, v68, 0xb09bdff9
	v_fmaak_f32 v67, v65, v67, 0x30438a61
	;; [unrolled: 1-line block ×3, first 2 shown]
	v_fmac_f32_e32 v81, v84, v81
	v_fmaak_f32 v68, v65, v68, 0x31f37576
	v_fmaak_f32 v67, v65, v67, 0xb17459f3
	;; [unrolled: 1-line block ×3, first 2 shown]
	v_mul_f32_e32 v99, v87, v81
	v_fmaak_f32 v68, v65, v68, 0xb370614f
	v_fmaak_f32 v67, v65, v67, 0x340b003d
	;; [unrolled: 1-line block ×3, first 2 shown]
	v_fma_f32 v101, -v71, v99, v87
	v_fmaak_f32 v68, v65, v68, 0x362874f9
	v_fmaak_f32 v67, v65, v67, 0xb68afd6b
	;; [unrolled: 1-line block ×3, first 2 shown]
	v_fmac_f32_e32 v99, v101, v81
	v_fmaak_f32 v68, v65, v68, 0xb88b2efe
	v_fmaak_f32 v67, v65, v67, 0x38a8b361
	;; [unrolled: 1-line block ×3, first 2 shown]
	v_fma_f32 v71, -v71, v99, v87
	v_fmaak_f32 v68, v65, v68, 0x3a92a77e
	v_fmaak_f32 v67, v65, v67, 0xba9b6f75
	;; [unrolled: 1-line block ×3, first 2 shown]
	v_div_fmas_f32 v71, v71, v81, v99
	v_fmaak_f32 v68, v65, v68, 0xbc6e2917
	v_fmaak_f32 v67, v65, v67, 0x3c7b638c
	;; [unrolled: 1-line block ×3, first 2 shown]
	v_div_fixup_f32 v70, v71, v82, v70
	v_fmaak_f32 v68, v65, v68, 0x3e290a2d
	v_add_f32_e32 v83, 1.0, v67
	v_fmaak_f32 v69, v65, v69, 0x3f46f6d6
	v_add_f32_e32 v85, 1.0, v68
	v_div_scale_f32 v65, null, v83, v83, v67
	v_add_f32_e32 v96, 1.0, v69
	v_div_scale_f32 v112, s4, v67, v83, v67
	v_div_scale_f32 v86, null, v85, v85, v68
	v_rcp_f32_e32 v84, v65
	v_div_scale_f32 v98, null, v96, v96, v69
	v_rcp_f32_e32 v97, v86
	v_div_scale_f32 v113, s5, v68, v85, v68
	v_rcp_f32_e32 v100, v98
	s_mov_b32 vcc_lo, s4
	v_fma_f32 v102, -v65, v84, 1.0
	v_fma_f32 v103, -v86, v97, 1.0
	v_fmac_f32_e32 v84, v102, v84
	v_fma_f32 v102, -v98, v100, 1.0
	v_fmac_f32_e32 v97, v103, v97
	v_div_scale_f32 v103, s6, v69, v96, v69
	v_mul_f32_e32 v114, v112, v84
	v_fmac_f32_e32 v100, v102, v100
	v_mul_f32_e32 v115, v113, v97
	v_fma_f32 v101, -v65, v114, v112
	v_mul_f32_e32 v116, v103, v100
	v_fma_f32 v102, -v86, v115, v113
	v_fmac_f32_e32 v114, v101, v84
	v_fma_f32 v87, -v98, v116, v103
	v_fmac_f32_e32 v115, v102, v97
	;; [unrolled: 2-line block ×3, first 2 shown]
	v_fma_f32 v81, -v86, v115, v113
	v_div_fmas_f32 v65, v65, v84, v114
	v_fma_f32 v84, -v98, v116, v103
	s_mov_b32 vcc_lo, s5
	v_div_fmas_f32 v81, v81, v97, v115
	s_mov_b32 vcc_lo, s6
	v_div_fixup_f32 v65, v65, v83, v67
	v_div_fmas_f32 v84, v84, v100, v116
	v_div_fixup_f32 v71, v81, v85, v68
	v_fma_f32 v70, -v80, v65, v70
	v_div_fixup_f32 v81, v84, v96, v69
	v_fma_f32 v80, -v66, v65, v80
	v_sub_f32_e32 v82, v81, v71
	v_sub_f32_e32 v83, v81, v65
	;; [unrolled: 1-line block ×3, first 2 shown]
	v_fma_f32 v84, -v71, v80, v70
	v_fma_f32 v70, v81, v80, -v70
	v_mul_f32_e32 v83, v82, v83
	v_mul_f32_e32 v65, v65, v82
	v_div_scale_f32 v71, null, v83, v83, v84
	v_div_scale_f32 v80, null, v65, v65, v70
	v_div_scale_f32 v87, vcc_lo, v84, v83, v84
	v_rcp_f32_e32 v81, v71
	v_rcp_f32_e32 v82, v80
	v_fma_f32 v85, -v71, v81, 1.0
	v_fma_f32 v86, -v80, v82, 1.0
	v_fmac_f32_e32 v81, v85, v81
	v_div_scale_f32 v85, s4, v70, v65, v70
	v_fmac_f32_e32 v82, v86, v82
	v_mul_f32_e32 v86, v87, v81
	v_mul_f32_e32 v96, v85, v82
	v_fma_f32 v97, -v71, v86, v87
	v_fma_f32 v98, -v80, v96, v85
	v_fmac_f32_e32 v86, v97, v81
	v_fmac_f32_e32 v96, v98, v82
	v_fma_f32 v71, -v71, v86, v87
	v_fma_f32 v80, -v80, v96, v85
	v_div_fmas_f32 v81, v71, v81, v86
	s_mov_b32 vcc_lo, s4
	v_div_fmas_f32 v71, v80, v82, v96
	v_div_fixup_f32 v71, v71, v65, v70
	v_div_fixup_f32 v70, v81, v83, v84
	v_sub_f32_e32 v65, v66, v71
	v_sub_f32_e32 v66, v65, v70
.LBB0_135:
	s_or_b32 exec_lo, exec_lo, s16
                                        ; implicit-def: $vgpr65
                                        ; implicit-def: $vgpr81
                                        ; implicit-def: $vgpr80
.LBB0_136:
	s_andn2_saveexec_b32 s6, s15
	s_cbranch_execz .LBB0_138
; %bb.137:
	v_div_scale_f32 v67, null, v65, v65, 0xc6060060
	v_div_scale_f32 v70, vcc_lo, 0xc6060060, v65, 0xc6060060
	v_div_scale_f32 v85, s4, 0xc5024921, v65, 0xc5024921
	v_rcp_f32_e32 v68, v67
	v_fma_f32 v69, -v67, v68, 1.0
	v_fmac_f32_e32 v68, v69, v68
	v_mul_f32_e32 v69, v70, v68
	v_fma_f32 v71, -v67, v69, v70
	v_fmac_f32_e32 v69, v71, v68
	v_fma_f32 v67, -v67, v69, v70
	v_div_fmas_f32 v67, v67, v68, v69
	v_div_fixup_f32 v67, v67, v65, 0xc6060060
	v_add_f32_e32 v67, 0x45b8b07a, v67
	v_div_scale_f32 v68, null, v65, v65, v67
	v_div_scale_f32 v71, vcc_lo, v67, v65, v67
	v_rcp_f32_e32 v69, v68
	v_fma_f32 v70, -v68, v69, 1.0
	v_fmac_f32_e32 v69, v70, v69
	v_mul_f32_e32 v70, v71, v69
	v_fma_f32 v82, -v68, v70, v71
	v_fmac_f32_e32 v70, v82, v69
	v_fma_f32 v68, -v68, v70, v71
	v_div_fmas_f32 v68, v68, v69, v70
	v_div_fixup_f32 v67, v68, v65, v67
	v_add_f32_e32 v67, 0xc4d58275, v67
	v_div_scale_f32 v68, null, v65, v65, v67
	v_div_scale_f32 v71, vcc_lo, v67, v65, v67
	v_rcp_f32_e32 v69, v68
	v_fma_f32 v70, -v68, v69, 1.0
	v_fmac_f32_e32 v69, v70, v69
	v_mul_f32_e32 v70, v71, v69
	v_fma_f32 v82, -v68, v70, v71
	v_fmac_f32_e32 v70, v82, v69
	v_fma_f32 v68, -v68, v70, v71
	v_div_fmas_f32 v68, v68, v69, v70
	v_div_scale_f32 v69, null, v65, v65, 0xc5024921
	v_div_fixup_f32 v67, v68, v65, v67
	v_add_f32_e32 v68, 0xbe8cee3d, v65
	v_rcp_f32_e32 v83, v69
	v_add_f32_e32 v67, 0x438444b2, v67
	v_div_scale_f32 v71, null, v68, v68, 0x3e8cee3d
	v_div_scale_f32 v86, s5, 0x3e8cee3d, v68, 0x3e8cee3d
	v_div_scale_f32 v70, null, v65, v65, v67
	v_rcp_f32_e32 v84, v71
	v_fma_f32 v96, -v69, v83, 1.0
	v_div_scale_f32 v98, vcc_lo, v67, v65, v67
	v_rcp_f32_e32 v82, v70
	v_fmac_f32_e32 v83, v96, v83
	v_fma_f32 v97, -v71, v84, 1.0
	v_mul_f32_e32 v96, v85, v83
	v_fma_f32 v87, -v70, v82, 1.0
	v_fmac_f32_e32 v84, v97, v84
	v_fma_f32 v100, -v69, v96, v85
	v_fmac_f32_e32 v82, v87, v82
	v_mul_f32_e32 v97, v86, v84
	v_fmac_f32_e32 v96, v100, v83
	v_mul_f32_e32 v87, v98, v82
	v_fma_f32 v101, -v71, v97, v86
	v_fma_f32 v69, -v69, v96, v85
	;; [unrolled: 1-line block ×3, first 2 shown]
	v_fmac_f32_e32 v97, v101, v84
	v_fmac_f32_e32 v87, v99, v82
	v_fma_f32 v71, -v71, v97, v86
	v_fma_f32 v70, -v70, v87, v98
	v_div_fmas_f32 v70, v70, v82, v87
	s_mov_b32 vcc_lo, s5
	s_mov_b32 s5, 0xb72984d9
	v_div_fmas_f32 v71, v71, v84, v97
	s_mov_b32 vcc_lo, s4
	v_fmaak_f32 v99, s5, v65, 0x3a9c9bdc
	v_div_fmas_f32 v69, v69, v83, v96
	s_mov_b32 s5, 0x39b1bf10
	v_div_fixup_f32 v70, v70, v65, v67
	v_fmaak_f32 v101, s5, v65, 0xbdbf7bb1
	v_div_fixup_f32 v69, v69, v65, 0xc5024921
	v_fmaak_f32 v67, v65, v101, 0xc0871bf9
	v_add_f32_e32 v69, 0xc4833fb4, v69
	v_div_scale_f32 v82, null, v65, v65, v69
	v_div_scale_f32 v85, vcc_lo, v69, v65, v69
	v_rcp_f32_e32 v83, v82
	v_fma_f32 v84, -v82, v83, 1.0
	v_fmac_f32_e32 v83, v84, v83
	v_mul_f32_e32 v84, v85, v83
	v_fma_f32 v86, -v82, v84, v85
	v_fmac_f32_e32 v84, v86, v83
	v_fma_f32 v82, -v82, v84, v85
	v_div_fmas_f32 v82, v82, v83, v84
	v_div_fixup_f32 v69, v82, v65, v69
	v_add_f32_e32 v69, 0x43a9f21d, v69
	v_div_scale_f32 v82, null, v65, v65, v69
	v_div_scale_f32 v85, vcc_lo, v69, v65, v69
	v_rcp_f32_e32 v83, v82
	v_fma_f32 v84, -v82, v83, 1.0
	v_fmac_f32_e32 v83, v84, v83
	v_mul_f32_e32 v84, v85, v83
	v_fma_f32 v86, -v82, v84, v85
	v_fmac_f32_e32 v84, v86, v83
	v_fma_f32 v82, -v82, v84, v85
	v_div_fmas_f32 v82, v82, v83, v84
	v_add_f32_e32 v83, 0xc02e6238, v65
	v_div_fixup_f32 v69, v82, v65, v69
	v_div_scale_f32 v85, null, v83, v83, 0x402e6238
	v_div_scale_f32 v98, s4, 0x402e6238, v83, 0x402e6238
	v_add_f32_e32 v69, 0xc31c2f4f, v69
	v_rcp_f32_e32 v86, v85
	v_div_scale_f32 v82, null, v65, v65, v69
	v_div_scale_f32 v96, vcc_lo, v69, v65, v69
	v_rcp_f32_e32 v84, v82
	v_fma_f32 v87, -v82, v84, 1.0
	v_fmac_f32_e32 v84, v87, v84
	v_fma_f32 v87, -v85, v86, 1.0
	v_mul_f32_e32 v97, v96, v84
	v_fmac_f32_e32 v86, v87, v86
	v_fma_f32 v87, -v82, v97, v96
	v_mul_f32_e32 v100, v98, v86
	v_fmac_f32_e32 v97, v87, v84
	v_fmaak_f32 v87, v65, v99, 0xbd89fc71
	v_fma_f32 v99, -v85, v100, v98
	v_fma_f32 v82, -v82, v97, v96
	v_fmaak_f32 v87, v65, v87, 0x3fa0e734
	v_fmac_f32_e32 v100, v99, v86
	v_div_fmas_f32 v82, v82, v84, v97
	s_mov_b32 vcc_lo, s4
	v_fma_f32 v84, -v85, v100, v98
	v_fmac_f32_e32 v70, v65, v87
	v_div_fixup_f32 v69, v82, v65, v69
	v_div_fmas_f32 v82, v84, v86, v100
	v_fmac_f32_e32 v69, v65, v67
	v_div_fixup_f32 v67, v71, v68, 0x3e8cee3d
	v_add_f32_e32 v65, 0xc1bedb3d, v70
	v_div_fixup_f32 v68, v82, v83, 0x402e6238
	v_sub_f32_e32 v70, v80, v66
	v_add_f32_e32 v69, 0x4100225e, v69
	v_fmac_f32_e32 v67, v81, v65
	v_fmac_f32_e32 v68, v81, v69
	;; [unrolled: 1-line block ×3, first 2 shown]
	v_add_f32_e32 v65, 1.0, v68
	v_sub_f32_e32 v69, v68, v67
	v_mul_f32_e32 v65, v65, v80
	v_div_scale_f32 v70, null, v69, v69, v65
	v_div_scale_f32 v81, vcc_lo, v65, v69, v65
	v_rcp_f32_e32 v71, v70
	v_fma_f32 v80, -v70, v71, 1.0
	v_fmac_f32_e32 v71, v80, v71
	v_mul_f32_e32 v80, v81, v71
	v_fma_f32 v82, -v70, v80, v81
	v_fmac_f32_e32 v80, v82, v71
	v_fma_f32 v70, -v70, v80, v81
	v_div_fmas_f32 v70, v70, v71, v80
	v_div_fixup_f32 v71, v70, v69, v65
	v_mov_b32_e32 v70, 0
	v_mov_b32_e32 v69, 0
	v_sub_f32_e32 v66, v66, v71
.LBB0_138:
	s_or_b32 exec_lo, exec_lo, s6
                                        ; implicit-def: $vgpr80
.LBB0_139:
	s_andn2_saveexec_b32 s4, s14
	s_cbranch_execz .LBB0_143
; %bb.140:
	v_mov_b32_e32 v70, 0
	v_mov_b32_e32 v67, 0
	s_mov_b32 s5, exec_lo
	v_cmpx_eq_u32_e32 0, v9
	s_cbranch_execz .LBB0_142
; %bb.141:
	v_sub_f32_e32 v65, v66, v80
	v_div_scale_f32 v67, null, v65, v65, v80
	v_rcp_f32_e32 v68, v67
	v_fma_f32 v69, -v67, v68, 1.0
	v_fmac_f32_e32 v68, v69, v68
	v_div_scale_f32 v69, vcc_lo, v80, v65, v80
	v_mul_f32_e32 v71, v69, v68
	v_fma_f32 v81, -v67, v71, v69
	v_fmac_f32_e32 v71, v81, v68
	v_fma_f32 v67, -v67, v71, v69
	v_div_fmas_f32 v67, v67, v68, v71
	v_div_fixup_f32 v67, v67, v65, v80
.LBB0_142:
	s_or_b32 exec_lo, exec_lo, s5
	v_mov_b32_e32 v71, 0
	v_mov_b32_e32 v69, 0
	;; [unrolled: 1-line block ×3, first 2 shown]
.LBB0_143:
	s_or_b32 exec_lo, exec_lo, s4
.LBB0_144:
	s_or_b32 exec_lo, exec_lo, s7
                                        ; implicit-def: $vgpr65
.LBB0_145:
	s_andn2_saveexec_b32 s7, s13
	s_cbranch_execz .LBB0_159
; %bb.146:
	v_div_scale_f32 v66, null, v65, v65, 0x3ef01d82
	v_div_scale_f32 v69, vcc_lo, 0x3ef01d82, v65, 0x3ef01d82
	v_rcp_f32_e32 v67, v66
	v_fma_f32 v68, -v66, v67, 1.0
	v_fmac_f32_e32 v67, v68, v67
	v_mul_f32_e32 v68, v69, v67
	v_fma_f32 v70, -v66, v68, v69
	v_fmac_f32_e32 v68, v70, v67
	v_fma_f32 v66, -v66, v68, v69
	v_div_fmas_f32 v66, v66, v67, v68
	v_div_fixup_f32 v66, v66, v65, 0x3ef01d82
	v_add_f32_e32 v66, 0xbf33161b, v66
	v_div_scale_f32 v67, null, v65, v65, v66
	v_div_scale_f32 v70, vcc_lo, v66, v65, v66
	v_rcp_f32_e32 v68, v67
	v_fma_f32 v69, -v67, v68, 1.0
	v_fmac_f32_e32 v68, v69, v68
	v_mul_f32_e32 v69, v70, v68
	v_fma_f32 v71, -v67, v69, v70
	v_fmac_f32_e32 v69, v71, v68
	v_fma_f32 v67, -v67, v69, v70
	v_div_fmas_f32 v67, v67, v68, v69
	v_div_fixup_f32 v66, v67, v65, v66
	v_add_f32_e32 v66, 0x3f0971cf, v66
	;; [unrolled: 12-line block ×4, first 2 shown]
	v_div_scale_f32 v67, null, v65, v65, v66
	v_div_scale_f32 v70, vcc_lo, v66, v65, v66
	v_rcp_f32_e32 v68, v67
	v_fma_f32 v69, -v67, v68, 1.0
	v_fmac_f32_e32 v68, v69, v68
	v_mul_f32_e32 v69, v70, v68
	v_fma_f32 v71, -v67, v69, v70
	v_fmac_f32_e32 v69, v71, v68
	v_fma_f32 v67, -v67, v69, v70
	v_div_fmas_f32 v67, v67, v68, v69
	v_div_scale_f32 v68, null, v65, v65, 0x3f490fdb
	v_div_fixup_f32 v66, v67, v65, v66
	v_rcp_f32_e32 v70, v68
	v_add_f32_e32 v66, 0xbeffeb20, v66
	v_div_scale_f32 v67, null, v65, v65, v66
	v_fma_f32 v80, -v68, v70, 1.0
	v_div_scale_f32 v81, vcc_lo, v66, v65, v66
	v_rcp_f32_e32 v69, v67
	v_fmac_f32_e32 v70, v80, v70
	v_fma_f32 v71, -v67, v69, 1.0
	v_fmac_f32_e32 v69, v71, v69
	v_div_scale_f32 v71, s4, 0x3f490fdb, v65, 0x3f490fdb
	v_mul_f32_e32 v80, v81, v69
	v_mul_f32_e32 v82, v71, v70
	v_fma_f32 v83, -v67, v80, v81
	v_fma_f32 v84, -v68, v82, v71
	v_fmac_f32_e32 v80, v83, v69
	v_fmac_f32_e32 v82, v84, v70
	v_fma_f32 v67, -v67, v80, v81
	v_fma_f32 v68, -v68, v82, v71
	v_div_fmas_f32 v67, v67, v69, v80
	s_mov_b32 vcc_lo, s4
	v_div_fmas_f32 v68, v68, v70, v82
	v_div_fixup_f32 v66, v67, v65, v66
	v_div_fixup_f32 v68, v68, v65, 0x3f490fdb
	v_mul_f32_e32 v69, 0x4f800000, v68
	v_cmp_gt_f32_e32 vcc_lo, 0xf800000, v68
	v_cndmask_b32_e32 v68, v68, v69, vcc_lo
	v_mul_f32_e32 v69, 0xbfb8aa3b, v65
	v_sqrt_f32_e32 v70, v68
	v_rndne_f32_e32 v71, v69
	v_fma_f32 v80, 0xbfb8aa3b, v65, -v69
	v_sub_f32_e32 v69, v69, v71
	v_fmamk_f32 v80, v65, 0xb2a5705f, v80
	v_cvt_i32_f32_e32 v71, v71
	v_add_nc_u32_e32 v81, -1, v70
	v_add_f32_e32 v69, v69, v80
	v_add_nc_u32_e32 v80, 1, v70
	v_fma_f32 v82, -v81, v70, v68
	v_exp_f32_e32 v69, v69
	v_fma_f32 v83, -v80, v70, v68
	v_cmp_ge_f32_e64 s4, 0, v82
	v_cndmask_b32_e64 v70, v70, v81, s4
	v_cmp_lt_f32_e64 s4, 0, v83
	v_ldexp_f32 v69, v69, v71
	v_add_f32_e32 v81, v65, v65
	v_cndmask_b32_e64 v70, v70, v80, s4
	v_cmp_nlt_f32_e64 s4, 0x42ce8ed0, v65
	v_mul_f32_e32 v71, 0x37800000, v70
	v_cndmask_b32_e64 v69, 0, v69, s4
	s_mov_b32 s4, exec_lo
	v_cndmask_b32_e32 v67, v70, v71, vcc_lo
	v_cmp_ngt_f32_e32 vcc_lo, 0xc2b17218, v65
	v_cndmask_b32_e32 v82, 0x7f800000, v69, vcc_lo
	v_cmp_class_f32_e64 vcc_lo, v68, 0x260
	v_add_f32_e32 v69, 0xb6536671, v66
	v_cndmask_b32_e32 v66, v67, v68, vcc_lo
	v_fmac_f32_e32 v66, v82, v69
	v_sub_f32_e32 v67, v66, v82
	v_div_scale_f32 v68, null, v81, v81, v67
	v_div_scale_f32 v71, vcc_lo, v67, v81, v67
	v_rcp_f32_e32 v69, v68
	v_fma_f32 v70, -v68, v69, 1.0
	v_fmac_f32_e32 v69, v70, v69
	v_mul_f32_e32 v70, v71, v69
	v_fma_f32 v80, -v68, v70, v71
	v_fmac_f32_e32 v70, v80, v69
	v_fma_f32 v68, -v68, v70, v71
                                        ; implicit-def: $vgpr71
	v_div_fmas_f32 v68, v68, v69, v70
                                        ; implicit-def: $vgpr70
                                        ; implicit-def: $vgpr69
	v_div_fixup_f32 v80, v68, v81, v67
                                        ; implicit-def: $vgpr68
                                        ; implicit-def: $vgpr67
	v_cmpx_lt_i32_e32 0, v9
	s_xor_b32 s13, exec_lo, s4
	s_cbranch_execz .LBB0_154
; %bb.147:
                                        ; implicit-def: $vgpr70
                                        ; implicit-def: $vgpr71
                                        ; implicit-def: $vgpr69
                                        ; implicit-def: $vgpr68
                                        ; implicit-def: $vgpr67
	s_mov_b32 s4, exec_lo
	v_cmpx_lt_i32_e32 1, v9
	s_xor_b32 s14, exec_lo, s4
	s_cbranch_execz .LBB0_151
; %bb.148:
	v_mov_b32_e32 v70, 0
	v_mov_b32_e32 v71, 0
	v_mov_b32_e32 v69, 0
	v_mov_b32_e32 v68, 0
	v_mov_b32_e32 v67, 0
	s_mov_b32 s15, exec_lo
	v_cmpx_eq_u32_e32 2, v9
	s_cbranch_execz .LBB0_150
; %bb.149:
	v_add_f32_e32 v65, 0xc0f00000, v65
	s_mov_b32 s4, 0x26259169
	s_mov_b32 s5, 0x27f012f7
	v_fma_f32 v70, 2.0, v80, v80
	v_fmaak_f32 v67, s4, v65, 0x264d2fc8
	v_fmaak_f32 v69, s5, v65, 0x2a503dd5
	s_mov_b32 s4, 0x284c6614
	v_sub_f32_e32 v70, v70, v82
	v_fmaak_f32 v68, s4, v65, 0x27fbf9fd
	v_fmaak_f32 v67, v65, v67, 0xa997b271
	;; [unrolled: 1-line block ×3, first 2 shown]
	v_div_scale_f32 v71, null, v81, v81, v70
	v_fmaak_f32 v68, v65, v68, 0xab71f1f5
	v_fmaak_f32 v67, v65, v67, 0xab30554d
	;; [unrolled: 1-line block ×3, first 2 shown]
	v_rcp_f32_e32 v82, v71
	v_div_scale_f32 v87, vcc_lo, v70, v81, v70
	v_fmaak_f32 v68, v65, v68, 0xacba40b2
	v_fmaak_f32 v67, v65, v67, 0x2d676934
	;; [unrolled: 1-line block ×6, first 2 shown]
	v_fma_f32 v84, -v71, v82, 1.0
	v_fmaak_f32 v68, v65, v68, 0x313c1292
	v_fmaak_f32 v67, v65, v67, 0x30bf15ab
	v_fmaak_f32 v69, v65, v69, 0xb385439a
	v_fmac_f32_e32 v82, v84, v82
	v_fmaak_f32 v68, v65, v68, 0xb2373c3d
	v_fmaak_f32 v67, v65, v67, 0xb347e8b8
	;; [unrolled: 1-line block ×3, first 2 shown]
	v_mul_f32_e32 v99, v87, v82
	v_fmaak_f32 v68, v65, v68, 0xb4ec5bd9
	v_fmaak_f32 v67, v65, v67, 0x35453202
	;; [unrolled: 1-line block ×3, first 2 shown]
	v_fma_f32 v101, -v71, v99, v87
	v_fmaak_f32 v68, v65, v68, 0x37226b9e
	v_fmaak_f32 v67, v65, v67, 0xb7364b67
	;; [unrolled: 1-line block ×3, first 2 shown]
	v_fmac_f32_e32 v99, v101, v82
	v_fmaak_f32 v68, v65, v68, 0xb93061d2
	v_fmaak_f32 v67, v65, v67, 0x393a92d3
	;; [unrolled: 1-line block ×3, first 2 shown]
	v_fma_f32 v71, -v71, v99, v87
	v_fmaak_f32 v68, v65, v68, 0x3b309523
	v_fmaak_f32 v67, v65, v67, 0xbb1d32a8
	;; [unrolled: 1-line block ×3, first 2 shown]
	v_div_fmas_f32 v71, v71, v82, v99
	v_fmaak_f32 v68, v65, v68, 0xbd04a59d
	v_fmaak_f32 v67, v65, v67, 0x3cc3e179
	;; [unrolled: 1-line block ×3, first 2 shown]
	v_div_fixup_f32 v70, v71, v81, v70
	v_fmaak_f32 v68, v65, v68, 0x3e8d4bde
	v_add_f32_e32 v83, 1.0, v67
	v_fmaak_f32 v69, v65, v69, 0x3fde2f9f
	v_add_f32_e32 v85, 1.0, v68
	v_div_scale_f32 v65, null, v83, v83, v67
	v_add_f32_e32 v96, 1.0, v69
	v_div_scale_f32 v112, s4, v67, v83, v67
	v_div_scale_f32 v86, null, v85, v85, v68
	v_rcp_f32_e32 v84, v65
	v_div_scale_f32 v98, null, v96, v96, v69
	v_rcp_f32_e32 v97, v86
	v_div_scale_f32 v113, s5, v68, v85, v68
	v_rcp_f32_e32 v100, v98
	s_mov_b32 vcc_lo, s4
	v_fma_f32 v102, -v65, v84, 1.0
	v_fma_f32 v103, -v86, v97, 1.0
	v_fmac_f32_e32 v84, v102, v84
	v_fma_f32 v102, -v98, v100, 1.0
	v_fmac_f32_e32 v97, v103, v97
	v_div_scale_f32 v103, s6, v69, v96, v69
	v_mul_f32_e32 v114, v112, v84
	v_fmac_f32_e32 v100, v102, v100
	v_mul_f32_e32 v115, v113, v97
	v_fma_f32 v101, -v65, v114, v112
	v_mul_f32_e32 v116, v103, v100
	v_fma_f32 v102, -v86, v115, v113
	v_fmac_f32_e32 v114, v101, v84
	v_fma_f32 v87, -v98, v116, v103
	v_fmac_f32_e32 v115, v102, v97
	;; [unrolled: 2-line block ×3, first 2 shown]
	v_fma_f32 v82, -v86, v115, v113
	v_div_fmas_f32 v65, v65, v84, v114
	v_fma_f32 v84, -v98, v116, v103
	s_mov_b32 vcc_lo, s5
	v_div_fmas_f32 v82, v82, v97, v115
	s_mov_b32 vcc_lo, s6
	v_div_fixup_f32 v65, v65, v83, v67
	v_div_fmas_f32 v84, v84, v100, v116
	v_div_fixup_f32 v71, v82, v85, v68
	v_fma_f32 v70, -v80, v65, v70
	v_div_fixup_f32 v81, v84, v96, v69
	v_fma_f32 v80, -v66, v65, v80
	v_sub_f32_e32 v82, v81, v71
	v_sub_f32_e32 v83, v81, v65
	;; [unrolled: 1-line block ×3, first 2 shown]
	v_fma_f32 v84, -v71, v80, v70
	v_fma_f32 v70, v81, v80, -v70
	v_mul_f32_e32 v83, v82, v83
	v_mul_f32_e32 v65, v65, v82
	v_div_scale_f32 v71, null, v83, v83, v84
	v_div_scale_f32 v80, null, v65, v65, v70
	v_div_scale_f32 v87, vcc_lo, v84, v83, v84
	v_rcp_f32_e32 v81, v71
	v_rcp_f32_e32 v82, v80
	v_fma_f32 v85, -v71, v81, 1.0
	v_fma_f32 v86, -v80, v82, 1.0
	v_fmac_f32_e32 v81, v85, v81
	v_div_scale_f32 v85, s4, v70, v65, v70
	v_fmac_f32_e32 v82, v86, v82
	v_mul_f32_e32 v86, v87, v81
	v_mul_f32_e32 v96, v85, v82
	v_fma_f32 v97, -v71, v86, v87
	v_fma_f32 v98, -v80, v96, v85
	v_fmac_f32_e32 v86, v97, v81
	v_fmac_f32_e32 v96, v98, v82
	v_fma_f32 v71, -v71, v86, v87
	v_fma_f32 v80, -v80, v96, v85
	v_div_fmas_f32 v81, v71, v81, v86
	s_mov_b32 vcc_lo, s4
	v_div_fmas_f32 v71, v80, v82, v96
	v_div_fixup_f32 v71, v71, v65, v70
	v_div_fixup_f32 v70, v81, v83, v84
	v_sub_f32_e32 v65, v66, v71
	v_sub_f32_e32 v66, v65, v70
.LBB0_150:
	s_or_b32 exec_lo, exec_lo, s15
                                        ; implicit-def: $vgpr65
                                        ; implicit-def: $vgpr80
.LBB0_151:
	s_andn2_saveexec_b32 s4, s14
	s_cbranch_execz .LBB0_153
; %bb.152:
	v_add_f32_e32 v65, 0xc0f00000, v65
	s_mov_b32 s5, 0xa52598e6
	v_sub_f32_e32 v69, v80, v66
	v_fmaak_f32 v67, s5, v65, 0x25894ff5
	s_mov_b32 s5, 0x28e01771
	v_fmaak_f32 v68, s5, v65, 0xaa19400c
	v_fmaak_f32 v67, v65, v67, 0x2874b170
	;; [unrolled: 1-line block ×26, first 2 shown]
	v_add_f32_e32 v65, 1.0, v68
	v_fmac_f32_e32 v80, v69, v67
	v_sub_f32_e32 v69, v68, v67
	v_mul_f32_e32 v65, v65, v80
	v_div_scale_f32 v70, null, v69, v69, v65
	v_div_scale_f32 v81, vcc_lo, v65, v69, v65
	v_rcp_f32_e32 v71, v70
	v_fma_f32 v80, -v70, v71, 1.0
	v_fmac_f32_e32 v71, v80, v71
	v_mul_f32_e32 v80, v81, v71
	v_fma_f32 v82, -v70, v80, v81
	v_fmac_f32_e32 v80, v82, v71
	v_fma_f32 v70, -v70, v80, v81
	v_div_fmas_f32 v70, v70, v71, v80
	v_div_fixup_f32 v71, v70, v69, v65
	v_mov_b32_e32 v70, 0
	v_mov_b32_e32 v69, 0
	v_sub_f32_e32 v66, v66, v71
.LBB0_153:
	s_or_b32 exec_lo, exec_lo, s4
                                        ; implicit-def: $vgpr80
.LBB0_154:
	s_andn2_saveexec_b32 s4, s13
	s_cbranch_execz .LBB0_158
; %bb.155:
	v_mov_b32_e32 v70, 0
	v_mov_b32_e32 v67, 0
	s_mov_b32 s5, exec_lo
	v_cmpx_eq_u32_e32 0, v9
	s_cbranch_execz .LBB0_157
; %bb.156:
	v_sub_f32_e32 v65, v66, v80
	v_div_scale_f32 v67, null, v65, v65, v80
	v_rcp_f32_e32 v68, v67
	v_fma_f32 v69, -v67, v68, 1.0
	v_fmac_f32_e32 v68, v69, v68
	v_div_scale_f32 v69, vcc_lo, v80, v65, v80
	v_mul_f32_e32 v71, v69, v68
	v_fma_f32 v81, -v67, v71, v69
	v_fmac_f32_e32 v71, v81, v68
	v_fma_f32 v67, -v67, v71, v69
	v_div_fmas_f32 v67, v67, v68, v71
	v_div_fixup_f32 v67, v67, v65, v80
.LBB0_157:
	s_or_b32 exec_lo, exec_lo, s5
	v_mov_b32_e32 v71, 0
	v_mov_b32_e32 v69, 0
	;; [unrolled: 1-line block ×3, first 2 shown]
.LBB0_158:
	s_or_b32 exec_lo, exec_lo, s4
.LBB0_159:
	s_or_b32 exec_lo, exec_lo, s7
                                        ; implicit-def: $vgpr65
.LBB0_160:
	s_andn2_saveexec_b32 s7, s12
	s_cbranch_execz .LBB0_364
; %bb.161:
	v_add_f32_e32 v80, -4.0, v65
                                        ; implicit-def: $vgpr70
                                        ; implicit-def: $vgpr71
                                        ; implicit-def: $vgpr66
                                        ; implicit-def: $vgpr69
                                        ; implicit-def: $vgpr68
                                        ; implicit-def: $vgpr67
	s_mov_b32 s4, exec_lo
	v_cmpx_lt_i32_e32 0, v9
	s_xor_b32 s12, exec_lo, s4
	s_cbranch_execz .LBB0_169
; %bb.162:
                                        ; implicit-def: $vgpr70
                                        ; implicit-def: $vgpr71
                                        ; implicit-def: $vgpr66
                                        ; implicit-def: $vgpr69
                                        ; implicit-def: $vgpr68
                                        ; implicit-def: $vgpr67
	s_mov_b32 s4, exec_lo
	v_cmpx_lt_i32_e32 1, v9
	s_xor_b32 s13, exec_lo, s4
	s_cbranch_execz .LBB0_166
; %bb.163:
	v_mov_b32_e32 v70, 0
	v_mov_b32_e32 v71, 0
	;; [unrolled: 1-line block ×6, first 2 shown]
	s_mov_b32 s14, exec_lo
	v_cmpx_eq_u32_e32 2, v9
	s_cbranch_execz .LBB0_165
; %bb.164:
	s_mov_b32 s5, 0xadd04817
	s_mov_b32 s4, 0x2d7dcb80
	v_fmaak_f32 v67, s5, v80, 0x2f9ef5e4
	v_fmaak_f32 v66, s4, v80, 0xb000439b
	v_mul_f32_e32 v69, 0xbfb8aa3b, v65
	s_mov_b32 s4, 0xade98f26
	s_mov_b32 s5, 0xafd7f66f
	v_fmaak_f32 v67, v80, v67, 0xb15a9abc
	v_fmaak_f32 v66, v80, v66, 0x32036958
	v_fmaak_f32 v68, s4, v80, 0x2f59351d
	v_fmaak_f32 v70, s5, v80, 0xb18f14fa
	v_rndne_f32_e32 v71, v69
	v_fmaak_f32 v67, v80, v67, 0x330bbb29
	v_fmaak_f32 v66, v80, v66, 0xb4041055
	v_fma_f32 v81, 0xbfb8aa3b, v65, -v69
	v_fmaak_f32 v68, v80, v68, 0x31146a0b
	v_fmaak_f32 v70, v80, v70, 0x333e03d4
	;; [unrolled: 1-line block ×4, first 2 shown]
	v_sub_f32_e32 v69, v69, v71
	v_fmamk_f32 v81, v65, 0xb2a5705f, v81
	v_fmaak_f32 v68, v80, v68, 0xb3aabc19
	v_fmaak_f32 v67, v80, v67, 0x3626eec8
	v_fmaak_f32 v70, v80, v70, 0x352bf3f3
	v_fmaak_f32 v66, v80, v66, 0xb7f0cb3c
	v_add_f32_e32 v69, v69, v81
	v_fmaak_f32 v68, v80, v68, 0x350a4009
	v_fmaak_f32 v67, v80, v67, 0xb798214c
	;; [unrolled: 1-line block ×4, first 2 shown]
	v_exp_f32_e32 v69, v69
	v_fmaak_f32 v68, v80, v68, 0x373b8ce3
	v_fmaak_f32 v67, v80, v67, 0x38f02260
	;; [unrolled: 1-line block ×4, first 2 shown]
	v_cvt_i32_f32_e32 v71, v71
	v_fmaak_f32 v68, v80, v68, 0xb9aef9bb
	v_fmaak_f32 v81, v80, v67, 0xba2011ae
	;; [unrolled: 1-line block ×4, first 2 shown]
	v_ldexp_f32 v66, v69, v71
	v_cmp_nlt_f32_e32 vcc_lo, 0x42ce8ed0, v65
	v_fmaak_f32 v69, v80, v81, 0x3b2d65dd
	v_fmaak_f32 v68, v80, v68, 0x3badde13
	;; [unrolled: 1-line block ×3, first 2 shown]
	v_add_f32_e32 v81, 1.0, v67
	v_cndmask_b32_e32 v66, 0, v66, vcc_lo
	v_fmaak_f32 v69, v80, v69, 0xbc0df41e
	v_cmp_ngt_f32_e32 vcc_lo, 0xc2b17218, v65
	v_fmaak_f32 v68, v80, v68, 0xbd73173b
	v_fmaak_f32 v70, v80, v70, 0xbf1fdf20
	v_add_f32_e32 v65, v65, v65
	v_fmaak_f32 v71, v80, v69, 0x3c8f923b
	v_cndmask_b32_e32 v66, 0x7f800000, v66, vcc_lo
	v_fmaak_f32 v68, v80, v68, 0x3edcc3b2
	v_fmaak_f32 v69, v80, v70, 0x40574dcb
	v_div_scale_f32 v82, null, v81, v81, v67
	v_fma_f32 v80, v65, v71, v66
	v_add_f32_e32 v70, 1.0, v68
	v_add_f32_e32 v84, 1.0, v69
	v_rcp_f32_e32 v86, v82
	v_div_scale_f32 v99, s4, v67, v81, v67
	v_div_scale_f32 v85, null, 0x40400000, 0x40400000, v80
	v_div_scale_f32 v83, null, v70, v70, v68
	;; [unrolled: 1-line block ×3, first 2 shown]
	v_rcp_f32_e32 v97, v85
	v_rcp_f32_e32 v87, v83
	v_fma_f32 v100, -v82, v86, 1.0
	v_rcp_f32_e32 v98, v96
	v_div_scale_f32 v103, vcc_lo, v80, 0x40400000, v80
	v_fmac_f32_e32 v86, v100, v86
	v_fma_f32 v102, -v85, v97, 1.0
	v_fma_f32 v101, -v83, v87, 1.0
	;; [unrolled: 1-line block ×3, first 2 shown]
	v_fmac_f32_e32 v97, v102, v97
	v_fmac_f32_e32 v87, v101, v87
	v_div_scale_f32 v101, s5, v68, v70, v68
	v_fmac_f32_e32 v98, v100, v98
	v_mul_f32_e32 v112, v103, v97
	v_div_scale_f32 v100, s6, v69, v84, v69
	v_mul_f32_e32 v102, v99, v86
	v_mul_f32_e32 v113, v101, v87
	v_fma_f32 v116, -v85, v112, v103
	v_mul_f32_e32 v114, v100, v98
	v_fma_f32 v115, -v82, v102, v99
	v_fma_f32 v117, -v83, v113, v101
	v_fmac_f32_e32 v112, v116, v97
	v_fma_f32 v118, -v96, v114, v100
	v_fmac_f32_e32 v102, v115, v86
	v_fmac_f32_e32 v113, v117, v87
	v_fma_f32 v85, -v85, v112, v103
	v_fmac_f32_e32 v114, v118, v98
	v_fma_f32 v82, -v82, v102, v99
	v_fma_f32 v83, -v83, v113, v101
	v_div_fmas_f32 v85, v85, v97, v112
	s_mov_b32 vcc_lo, s4
	v_fma_f32 v96, -v96, v114, v100
	v_div_fmas_f32 v82, v82, v86, v102
	s_mov_b32 vcc_lo, s5
	v_div_fixup_f32 v80, v85, 0x40400000, v80
	v_div_fmas_f32 v83, v83, v87, v113
	s_mov_b32 vcc_lo, s6
	v_div_fixup_f32 v81, v82, v81, v67
	v_div_fmas_f32 v85, v96, v98, v114
	v_fmac_f32_e32 v66, v65, v80
	v_div_fixup_f32 v70, v83, v70, v68
	v_fma_f32 v71, -v81, v80, v71
	v_div_fixup_f32 v65, v85, v84, v69
	v_fma_f32 v80, -v81, v66, v80
	v_sub_f32_e32 v82, v65, v70
	v_sub_f32_e32 v83, v65, v81
	;; [unrolled: 1-line block ×3, first 2 shown]
	v_fma_f32 v70, -v70, v80, v71
	v_fma_f32 v65, v65, v80, -v71
	v_mul_f32_e32 v83, v82, v83
	v_mul_f32_e32 v71, v82, v81
	v_div_scale_f32 v80, null, v83, v83, v70
	v_div_scale_f32 v81, null, v71, v71, v65
	v_div_scale_f32 v87, vcc_lo, v70, v83, v70
	v_rcp_f32_e32 v82, v80
	v_rcp_f32_e32 v84, v81
	v_fma_f32 v85, -v80, v82, 1.0
	v_fma_f32 v86, -v81, v84, 1.0
	v_fmac_f32_e32 v82, v85, v82
	v_div_scale_f32 v85, s4, v65, v71, v65
	v_fmac_f32_e32 v84, v86, v84
	v_mul_f32_e32 v86, v87, v82
	v_mul_f32_e32 v96, v85, v84
	v_fma_f32 v97, -v80, v86, v87
	v_fma_f32 v98, -v81, v96, v85
	v_fmac_f32_e32 v86, v97, v82
	v_fmac_f32_e32 v96, v98, v84
	v_fma_f32 v80, -v80, v86, v87
	v_fma_f32 v81, -v81, v96, v85
	v_div_fmas_f32 v80, v80, v82, v86
	s_mov_b32 vcc_lo, s4
	v_div_fmas_f32 v81, v81, v84, v96
	v_div_fixup_f32 v70, v80, v83, v70
	v_div_fixup_f32 v71, v81, v71, v65
	v_sub_f32_e32 v65, v66, v71
	v_sub_f32_e32 v66, v65, v70
.LBB0_165:
	s_or_b32 exec_lo, exec_lo, s14
                                        ; implicit-def: $vgpr80
                                        ; implicit-def: $vgpr65
.LBB0_166:
	s_andn2_saveexec_b32 s4, s13
	s_cbranch_execz .LBB0_168
; %bb.167:
	s_mov_b32 s5, 0xade6db4a
	v_mul_f32_e32 v67, 0xbfb8aa3b, v65
	v_fmaak_f32 v66, s5, v80, 0x2fb22351
	s_mov_b32 s5, 0xaf4685e4
	s_mov_b32 s6, 0xac90ce0a
	v_fmaak_f32 v68, s5, v80, 0x30158db2
	v_rndne_f32_e32 v69, v67
	v_fmaak_f32 v66, v80, v66, 0xb1786b26
	v_fma_f32 v70, 0xbfb8aa3b, v65, -v67
	v_fmaak_f32 v71, s6, v80, 0x2e9c54b0
	v_fmaak_f32 v68, v80, v68, 0x3289bd4b
	v_sub_f32_e32 v67, v67, v69
	v_fmaak_f32 v66, v80, v66, 0x33218076
	v_fmamk_f32 v70, v65, 0xb2a5705f, v70
	v_fmaak_f32 v71, v80, v71, 0xb0ee7801
	v_fmaak_f32 v68, v80, v68, 0xb420d855
	v_cvt_i32_f32_e32 v69, v69
	v_fmaak_f32 v66, v80, v66, 0xb4bec7bc
	v_add_f32_e32 v67, v67, v70
	v_fmaak_f32 v70, v80, v71, 0x337eb864
	v_fmaak_f32 v68, v80, v68, 0xb53c5c79
	v_cmp_nlt_f32_e32 vcc_lo, 0x42ce8ed0, v65
	v_fmaak_f32 v66, v80, v66, 0x364ad720
	v_exp_f32_e32 v67, v67
	v_fmaak_f32 v70, v80, v70, 0xb583020c
	v_fmaak_f32 v68, v80, v68, 0x379bedff
	v_add_f32_e32 v71, v65, v65
	v_fmaak_f32 v66, v80, v66, 0xb7c01b80
	v_fmaak_f32 v70, v80, v70, 0x373601b0
	;; [unrolled: 1-line block ×4, first 2 shown]
	v_ldexp_f32 v67, v67, v69
	v_fmaak_f32 v69, v80, v70, 0xb8ec27f6
	v_fmaak_f32 v68, v80, v68, 0xbb236640
	;; [unrolled: 1-line block ×3, first 2 shown]
	v_cndmask_b32_e32 v67, 0, v67, vcc_lo
	v_cmp_ngt_f32_e32 vcc_lo, 0xc2b17218, v65
	v_fmaak_f32 v69, v80, v69, 0x3a9851e9
	v_fmaak_f32 v68, v80, v68, 0x3d120b0d
	;; [unrolled: 1-line block ×3, first 2 shown]
	v_cndmask_b32_e32 v65, 0x7f800000, v67, vcc_lo
	v_fmaak_f32 v67, v80, v69, 0xbc2221af
	v_fmaak_f32 v68, v80, v68, 0xbe85556f
	;; [unrolled: 1-line block ×6, first 2 shown]
	v_add_f32_e32 v70, 1.0, v68
	v_fmac_f32_e32 v65, v71, v66
	v_sub_f32_e32 v69, v66, v65
	v_fmac_f32_e32 v66, v67, v69
	v_sub_f32_e32 v69, v68, v67
	v_mul_f32_e32 v66, v70, v66
	v_div_scale_f32 v70, null, v69, v69, v66
	v_div_scale_f32 v81, vcc_lo, v66, v69, v66
	v_rcp_f32_e32 v71, v70
	v_fma_f32 v80, -v70, v71, 1.0
	v_fmac_f32_e32 v71, v80, v71
	v_mul_f32_e32 v80, v81, v71
	v_fma_f32 v82, -v70, v80, v81
	v_fmac_f32_e32 v80, v82, v71
	v_fma_f32 v70, -v70, v80, v81
	v_div_fmas_f32 v70, v70, v71, v80
	v_div_fixup_f32 v71, v70, v69, v66
	v_mov_b32_e32 v70, 0
	v_mov_b32_e32 v69, 0
	v_sub_f32_e32 v66, v65, v71
.LBB0_168:
	s_or_b32 exec_lo, exec_lo, s4
                                        ; implicit-def: $vgpr80
                                        ; implicit-def: $vgpr65
.LBB0_169:
	s_andn2_saveexec_b32 s4, s12
	s_cbranch_execz .LBB0_173
; %bb.170:
	v_mov_b32_e32 v70, 0
	v_mov_b32_e32 v66, 0
	;; [unrolled: 1-line block ×3, first 2 shown]
	s_mov_b32 s5, exec_lo
	v_cmpx_eq_u32_e32 0, v9
	s_cbranch_execz .LBB0_172
; %bb.171:
	s_mov_b32 s6, 0xade6db4a
	v_mul_f32_e32 v67, 0xbfb8aa3b, v65
	v_fmaak_f32 v66, s6, v80, 0x2fb22351
	v_cmp_nlt_f32_e32 vcc_lo, 0x42ce8ed0, v65
	v_rndne_f32_e32 v68, v67
	v_fmaak_f32 v66, v80, v66, 0xb1786b26
	v_fma_f32 v69, 0xbfb8aa3b, v65, -v67
	v_sub_f32_e32 v67, v67, v68
	v_fmaak_f32 v66, v80, v66, 0x33218076
	v_fmamk_f32 v69, v65, 0xb2a5705f, v69
	v_cvt_i32_f32_e32 v68, v68
	v_fmaak_f32 v66, v80, v66, 0xb4bec7bc
	v_add_f32_e32 v67, v67, v69
	v_add_f32_e32 v69, v65, v65
	v_fmaak_f32 v66, v80, v66, 0x364ad720
	v_exp_f32_e32 v67, v67
	v_fmaak_f32 v66, v80, v66, 0xb7c01b80
	v_fmaak_f32 v66, v80, v66, 0x392011ae
	v_ldexp_f32 v67, v67, v68
	v_fmaak_f32 v66, v80, v66, 0xba67327d
	v_cndmask_b32_e32 v67, 0, v67, vcc_lo
	v_cmp_ngt_f32_e32 vcc_lo, 0xc2b17218, v65
	v_fmaak_f32 v66, v80, v66, 0x3b8df41e
	v_fmaak_f32 v68, v80, v66, 0xbc8f923b
	v_cndmask_b32_e32 v66, 0x7f800000, v67, vcc_lo
	v_fmaak_f32 v65, v80, v68, 0x3d586f6b
	v_fmac_f32_e32 v66, v69, v65
	v_sub_f32_e32 v67, v66, v65
	v_div_scale_f32 v68, null, v67, v67, v65
	v_rcp_f32_e32 v69, v68
	v_fma_f32 v71, -v68, v69, 1.0
	v_fmac_f32_e32 v69, v71, v69
	v_div_scale_f32 v71, vcc_lo, v65, v67, v65
	v_mul_f32_e32 v80, v71, v69
	v_fma_f32 v81, -v68, v80, v71
	v_fmac_f32_e32 v80, v81, v69
	v_fma_f32 v68, -v68, v80, v71
	v_div_fmas_f32 v68, v68, v69, v80
	v_div_fixup_f32 v67, v68, v67, v65
.LBB0_172:
	s_or_b32 exec_lo, exec_lo, s5
	v_mov_b32_e32 v71, 0
	v_mov_b32_e32 v69, 0
	;; [unrolled: 1-line block ×3, first 2 shown]
.LBB0_173:
	s_or_b32 exec_lo, exec_lo, s4
	s_or_b32 exec_lo, exec_lo, s7
                                        ; implicit-def: $vgpr65
.LBB0_174:
	s_andn2_saveexec_b32 s7, s11
	s_cbranch_execz .LBB0_365
.LBB0_175:
	v_add_f32_e32 v80, -2.0, v65
                                        ; implicit-def: $vgpr70
                                        ; implicit-def: $vgpr71
                                        ; implicit-def: $vgpr66
                                        ; implicit-def: $vgpr69
                                        ; implicit-def: $vgpr68
                                        ; implicit-def: $vgpr67
	s_mov_b32 s4, exec_lo
	v_cmpx_lt_i32_e32 0, v9
	s_xor_b32 s11, exec_lo, s4
	s_cbranch_execz .LBB0_183
; %bb.176:
                                        ; implicit-def: $vgpr70
                                        ; implicit-def: $vgpr71
                                        ; implicit-def: $vgpr66
                                        ; implicit-def: $vgpr69
                                        ; implicit-def: $vgpr68
                                        ; implicit-def: $vgpr67
	s_mov_b32 s4, exec_lo
	v_cmpx_lt_i32_e32 1, v9
	s_xor_b32 s12, exec_lo, s4
	s_cbranch_execz .LBB0_180
; %bb.177:
	v_mov_b32_e32 v70, 0
	v_mov_b32_e32 v71, 0
	v_mov_b32_e32 v66, 0
	v_mov_b32_e32 v69, 0
	v_mov_b32_e32 v68, 0
	v_mov_b32_e32 v67, 0
	s_mov_b32 s13, exec_lo
	v_cmpx_eq_u32_e32 2, v9
	s_cbranch_execz .LBB0_179
; %bb.178:
	s_mov_b32 s4, 0x2bcba156
	s_mov_b32 s5, 0xaf22c6bf
	v_fmaak_f32 v66, s4, v80, 0x2caabff3
	v_fmaak_f32 v67, s5, v80, 0x30f4db6f
	v_mul_f32_e32 v68, 0xbfb8aa3b, v65
	s_mov_b32 s4, 0x303f4e21
	s_mov_b32 s5, 0xaf9ac11f
	v_fmaak_f32 v66, v80, v66, 0xb0341271
	v_fmaak_f32 v67, v80, v67, 0xb2a55e4f
	;; [unrolled: 1-line block ×4, first 2 shown]
	v_rndne_f32_e32 v71, v68
	v_fmaak_f32 v66, v80, v66, 0x32868327
	v_fmaak_f32 v67, v80, v67, 0x344f05bc
	v_fma_f32 v81, 0xbfb8aa3b, v65, -v68
	v_fmaak_f32 v69, v80, v69, 0xb390da29
	v_fmaak_f32 v70, v80, v70, 0x3342d558
	;; [unrolled: 1-line block ×4, first 2 shown]
	v_sub_f32_e32 v68, v68, v71
	v_fmamk_f32 v81, v65, 0xb2a5705f, v81
	v_fmaak_f32 v69, v80, v69, 0x35c9a4ee
	v_fmaak_f32 v66, v80, v66, 0x36818f53
	;; [unrolled: 1-line block ×4, first 2 shown]
	v_add_f32_e32 v68, v68, v81
	v_fmaak_f32 v69, v80, v69, 0x3585304b
	v_fmaak_f32 v66, v80, v66, 0xb857593b
	;; [unrolled: 1-line block ×4, first 2 shown]
	v_exp_f32_e32 v68, v68
	v_fmaak_f32 v69, v80, v69, 0xb9cc067d
	v_fmaak_f32 v66, v80, v66, 0x3a1e1fb3
	;; [unrolled: 1-line block ×4, first 2 shown]
	v_cvt_i32_f32_e32 v71, v71
	v_fmaak_f32 v69, v80, v69, 0x3bf64487
	v_fmaak_f32 v66, v80, v66, 0xbbc848cc
	;; [unrolled: 1-line block ×4, first 2 shown]
	v_ldexp_f32 v68, v68, v71
	v_cmp_nlt_f32_e32 vcc_lo, 0x42ce8ed0, v65
	v_fmaak_f32 v67, v80, v66, 0x3d396045
	v_fmaak_f32 v66, v80, v81, 0x3c3a86e5
	;; [unrolled: 1-line block ×4, first 2 shown]
	v_cndmask_b32_e32 v71, 0, v68, vcc_lo
	v_cmp_ngt_f32_e32 vcc_lo, 0xc2b17218, v65
	v_fmaak_f32 v66, v80, v66, 0xbd047be0
	v_fmaak_f32 v68, v80, v69, 0x3f12ecf6
	;; [unrolled: 1-line block ×3, first 2 shown]
	v_add_f32_e32 v65, v65, v65
	v_cndmask_b32_e32 v81, 0x7f800000, v71, vcc_lo
	v_fmaak_f32 v66, v80, v66, 0x3d58da91
	v_add_f32_e32 v71, 1.0, v68
	v_fmaak_f32 v69, v80, v69, 0x4099febe
	v_add_f32_e32 v70, 1.0, v67
	v_fma_f32 v80, v65, v66, v81
	v_div_scale_f32 v83, null, v71, v71, v68
	v_add_f32_e32 v84, 1.0, v69
	v_div_scale_f32 v82, null, v70, v70, v67
	v_div_scale_f32 v85, null, 0x40400000, 0x40400000, v80
	v_rcp_f32_e32 v87, v83
	v_div_scale_f32 v96, null, v84, v84, v69
	v_rcp_f32_e32 v97, v85
	v_rcp_f32_e32 v86, v82
	v_div_scale_f32 v103, vcc_lo, v80, 0x40400000, v80
	v_rcp_f32_e32 v98, v96
	v_div_scale_f32 v99, s4, v67, v70, v67
	v_fma_f32 v100, -v83, v87, 1.0
	v_fma_f32 v102, -v85, v97, 1.0
	;; [unrolled: 1-line block ×3, first 2 shown]
	v_fmac_f32_e32 v87, v100, v87
	v_fma_f32 v100, -v96, v98, 1.0
	v_fmac_f32_e32 v97, v102, v97
	v_fmac_f32_e32 v86, v101, v86
	v_div_scale_f32 v101, s5, v68, v71, v68
	v_fmac_f32_e32 v98, v100, v98
	v_mul_f32_e32 v112, v103, v97
	v_div_scale_f32 v100, s6, v69, v84, v69
	v_mul_f32_e32 v113, v99, v86
	v_mul_f32_e32 v102, v101, v87
	v_fma_f32 v116, -v85, v112, v103
	v_mul_f32_e32 v114, v100, v98
	v_fma_f32 v117, -v82, v113, v99
	v_fma_f32 v115, -v83, v102, v101
	v_fmac_f32_e32 v112, v116, v97
	v_fma_f32 v118, -v96, v114, v100
	v_fmac_f32_e32 v113, v117, v86
	v_fmac_f32_e32 v102, v115, v87
	v_fma_f32 v85, -v85, v112, v103
	v_fmac_f32_e32 v114, v118, v98
	v_fma_f32 v82, -v82, v113, v99
	v_fma_f32 v83, -v83, v102, v101
	v_div_fmas_f32 v85, v85, v97, v112
	s_mov_b32 vcc_lo, s4
	v_fma_f32 v96, -v96, v114, v100
	v_div_fmas_f32 v82, v82, v86, v113
	s_mov_b32 vcc_lo, s5
	v_div_fixup_f32 v80, v85, 0x40400000, v80
	v_div_fmas_f32 v83, v83, v87, v102
	s_mov_b32 vcc_lo, s6
	v_div_fixup_f32 v70, v82, v70, v67
	v_div_fmas_f32 v85, v96, v98, v114
	v_fmac_f32_e32 v81, v65, v80
	v_div_fixup_f32 v71, v83, v71, v68
	v_fma_f32 v66, -v70, v80, v66
	v_div_fixup_f32 v65, v85, v84, v69
	v_fma_f32 v80, -v70, v81, v80
	v_sub_f32_e32 v82, v65, v71
	v_sub_f32_e32 v83, v65, v70
	;; [unrolled: 1-line block ×3, first 2 shown]
	v_fma_f32 v84, -v71, v80, v66
	v_fma_f32 v65, v65, v80, -v66
	v_mul_f32_e32 v83, v82, v83
	v_mul_f32_e32 v66, v82, v70
	v_div_scale_f32 v70, null, v83, v83, v84
	v_div_scale_f32 v71, null, v66, v66, v65
	v_div_scale_f32 v87, vcc_lo, v84, v83, v84
	v_rcp_f32_e32 v80, v70
	v_rcp_f32_e32 v82, v71
	v_fma_f32 v85, -v70, v80, 1.0
	v_fma_f32 v86, -v71, v82, 1.0
	v_fmac_f32_e32 v80, v85, v80
	v_div_scale_f32 v85, s4, v65, v66, v65
	v_fmac_f32_e32 v82, v86, v82
	v_mul_f32_e32 v86, v87, v80
	v_mul_f32_e32 v96, v85, v82
	v_fma_f32 v97, -v70, v86, v87
	v_fma_f32 v98, -v71, v96, v85
	v_fmac_f32_e32 v86, v97, v80
	v_fmac_f32_e32 v96, v98, v82
	v_fma_f32 v70, -v70, v86, v87
	v_fma_f32 v71, -v71, v96, v85
	v_div_fmas_f32 v70, v70, v80, v86
	s_mov_b32 vcc_lo, s4
	v_div_fmas_f32 v71, v71, v82, v96
	v_div_fixup_f32 v70, v70, v83, v84
	v_div_fixup_f32 v71, v71, v66, v65
	v_sub_f32_e32 v65, v81, v71
	v_sub_f32_e32 v66, v65, v70
.LBB0_179:
	s_or_b32 exec_lo, exec_lo, s13
                                        ; implicit-def: $vgpr80
                                        ; implicit-def: $vgpr65
.LBB0_180:
	s_andn2_saveexec_b32 s4, s12
	s_cbranch_execz .LBB0_182
; %bb.181:
	s_mov_b32 s5, 0xaf31cb49
	v_mul_f32_e32 v67, 0xbfb8aa3b, v65
	v_fmaak_f32 v66, s5, v80, 0x3106d68d
	s_mov_b32 s5, 0xace01337
	s_mov_b32 s6, 0x2f1fcb23
	v_fmaak_f32 v68, s5, v80, 0x2eba5957
	v_fmaak_f32 v69, s6, v80, 0x310e536f
	;; [unrolled: 1-line block ×3, first 2 shown]
	v_rndne_f32_e32 v70, v67
	v_fma_f32 v71, 0xbfb8aa3b, v65, -v67
	v_fmaak_f32 v68, v80, v68, 0xb00d9f71
	v_fmaak_f32 v69, v80, v69, 0xb2a165e8
	;; [unrolled: 1-line block ×3, first 2 shown]
	v_sub_f32_e32 v67, v67, v70
	v_fmamk_f32 v71, v65, 0xb2a5705f, v71
	v_fmaak_f32 v68, v80, v68, 0xafd37520
	v_fmaak_f32 v69, v80, v69, 0xb4394f7d
	;; [unrolled: 1-line block ×3, first 2 shown]
	v_cvt_i32_f32_e32 v70, v70
	v_add_f32_e32 v67, v67, v71
	v_fmaak_f32 v68, v80, v68, 0x33b5f0b5
	v_fmaak_f32 v69, v80, v69, 0x3616d1dc
	;; [unrolled: 1-line block ×3, first 2 shown]
	v_cmp_nlt_f32_e32 vcc_lo, 0x42ce8ed0, v65
	v_exp_f32_e32 v67, v67
	v_fmaak_f32 v68, v80, v68, 0xb5f8b6ab
	v_fmaak_f32 v69, v80, v69, 0x3723e08c
	v_fmaak_f32 v66, v80, v66, 0xb8f4d278
	v_add_f32_e32 v71, v65, v65
	v_fmaak_f32 v68, v80, v68, 0x37cf5c03
	v_fmaak_f32 v69, v80, v69, 0xb94a8b33
	;; [unrolled: 1-line block ×3, first 2 shown]
	v_ldexp_f32 v67, v67, v70
	v_fmaak_f32 v68, v80, v68, 0xb9828eac
	v_fmaak_f32 v69, v80, v69, 0xbacf2d86
	v_fmaak_f32 v66, v80, v66, 0xbb78b3dc
	v_cndmask_b32_e32 v67, 0, v67, vcc_lo
	v_cmp_ngt_f32_e32 vcc_lo, 0xc2b17218, v65
	v_fmaak_f32 v68, v80, v68, 0x3b0fa32a
	v_fmaak_f32 v66, v80, v66, 0x3c847be0
	;; [unrolled: 1-line block ×3, first 2 shown]
	v_cndmask_b32_e32 v65, 0x7f800000, v67, vcc_lo
	v_fmaak_f32 v67, v80, v68, 0xbc85cca5
	v_fmaak_f32 v66, v80, v66, 0xbd58da91
	v_fmaak_f32 v68, v80, v69, 0xbedc8cc8
	v_fmaak_f32 v67, v80, v67, 0x3db1c8b1
	v_fmaak_f32 v66, v80, v66, 0x3decf544
	v_fmaak_f32 v68, v80, v68, 0x3fe6e9cb
	v_fmac_f32_e32 v65, v71, v66
	v_add_f32_e32 v70, 1.0, v68
	v_sub_f32_e32 v69, v66, v65
	v_fmac_f32_e32 v66, v67, v69
	v_sub_f32_e32 v69, v68, v67
	v_mul_f32_e32 v66, v70, v66
	v_div_scale_f32 v70, null, v69, v69, v66
	v_div_scale_f32 v81, vcc_lo, v66, v69, v66
	v_rcp_f32_e32 v71, v70
	v_fma_f32 v80, -v70, v71, 1.0
	v_fmac_f32_e32 v71, v80, v71
	v_mul_f32_e32 v80, v81, v71
	v_fma_f32 v82, -v70, v80, v81
	v_fmac_f32_e32 v80, v82, v71
	v_fma_f32 v70, -v70, v80, v81
	v_div_fmas_f32 v70, v70, v71, v80
	v_div_fixup_f32 v71, v70, v69, v66
	v_mov_b32_e32 v70, 0
	v_mov_b32_e32 v69, 0
	v_sub_f32_e32 v66, v65, v71
.LBB0_182:
	s_or_b32 exec_lo, exec_lo, s4
                                        ; implicit-def: $vgpr80
                                        ; implicit-def: $vgpr65
.LBB0_183:
	s_andn2_saveexec_b32 s4, s11
	s_cbranch_execz .LBB0_187
; %bb.184:
	v_mov_b32_e32 v70, 0
	v_mov_b32_e32 v66, 0
	v_mov_b32_e32 v67, 0
	s_mov_b32 s5, exec_lo
	v_cmpx_eq_u32_e32 0, v9
	s_cbranch_execz .LBB0_186
; %bb.185:
	s_mov_b32 s6, 0xaf31cb49
	v_mul_f32_e32 v67, 0xbfb8aa3b, v65
	v_fmaak_f32 v66, s6, v80, 0x3106d68d
	v_cmp_nlt_f32_e32 vcc_lo, 0x42ce8ed0, v65
	v_rndne_f32_e32 v68, v67
	v_fmaak_f32 v66, v80, v66, 0xb2b806a8
	v_fma_f32 v69, 0xbfb8aa3b, v65, -v67
	v_sub_f32_e32 v67, v67, v68
	v_fmaak_f32 v66, v80, v66, 0x34693c08
	v_fmamk_f32 v69, v65, 0xb2a5705f, v69
	v_cvt_i32_f32_e32 v68, v68
	v_fmaak_f32 v66, v80, v66, 0xb6057233
	v_add_f32_e32 v67, v67, v69
	v_add_f32_e32 v69, v65, v65
	v_fmaak_f32 v66, v80, v66, 0x3788416e
	v_exp_f32_e32 v67, v67
	v_fmaak_f32 v66, v80, v66, 0xb8f4d278
	v_fmaak_f32 v66, v80, v66, 0x3a3e0676
	v_ldexp_f32 v67, v67, v68
	v_fmaak_f32 v66, v80, v66, 0xbb78b3dc
	v_cndmask_b32_e32 v67, 0, v67, vcc_lo
	v_cmp_ngt_f32_e32 vcc_lo, 0xc2b17218, v65
	v_fmaak_f32 v66, v80, v66, 0x3c847be0
	v_fmaak_f32 v68, v80, v66, 0xbd58da91
	v_cndmask_b32_e32 v66, 0x7f800000, v67, vcc_lo
	v_fmaak_f32 v65, v80, v68, 0x3decf544
	v_fmac_f32_e32 v66, v69, v65
	v_sub_f32_e32 v67, v66, v65
	v_div_scale_f32 v68, null, v67, v67, v65
	v_rcp_f32_e32 v69, v68
	v_fma_f32 v71, -v68, v69, 1.0
	v_fmac_f32_e32 v69, v71, v69
	v_div_scale_f32 v71, vcc_lo, v65, v67, v65
	v_mul_f32_e32 v80, v71, v69
	v_fma_f32 v81, -v68, v80, v71
	v_fmac_f32_e32 v80, v81, v69
	v_fma_f32 v68, -v68, v80, v71
	v_div_fmas_f32 v68, v68, v69, v80
	v_div_fixup_f32 v67, v68, v67, v65
.LBB0_186:
	s_or_b32 exec_lo, exec_lo, s5
	v_mov_b32_e32 v71, 0
	v_mov_b32_e32 v69, 0
	v_mov_b32_e32 v68, 0
.LBB0_187:
	s_or_b32 exec_lo, exec_lo, s4
	s_or_b32 exec_lo, exec_lo, s7
                                        ; implicit-def: $vgpr65
.LBB0_188:
	s_andn2_saveexec_b32 s7, s10
	s_cbranch_execz .LBB0_366
.LBB0_189:
                                        ; implicit-def: $vgpr70
                                        ; implicit-def: $vgpr71
                                        ; implicit-def: $vgpr66
                                        ; implicit-def: $vgpr69
                                        ; implicit-def: $vgpr68
                                        ; implicit-def: $vgpr67
	s_mov_b32 s4, exec_lo
	v_cmpx_lt_i32_e32 0, v9
	s_xor_b32 s10, exec_lo, s4
	s_cbranch_execz .LBB0_197
; %bb.190:
                                        ; implicit-def: $vgpr70
                                        ; implicit-def: $vgpr71
                                        ; implicit-def: $vgpr66
                                        ; implicit-def: $vgpr69
                                        ; implicit-def: $vgpr68
                                        ; implicit-def: $vgpr67
	s_mov_b32 s4, exec_lo
	v_cmpx_lt_i32_e32 1, v9
	s_xor_b32 s11, exec_lo, s4
	s_cbranch_execz .LBB0_194
; %bb.191:
	v_mov_b32_e32 v70, 0
	v_mov_b32_e32 v71, 0
	;; [unrolled: 1-line block ×6, first 2 shown]
	s_mov_b32 s12, exec_lo
	v_cmpx_eq_u32_e32 2, v9
	s_cbranch_execz .LBB0_193
; %bb.192:
	s_mov_b32 s4, 0xb3a3678d
	v_mul_f32_e32 v66, 0xbfb8aa3b, v65
	v_fmaak_f32 v67, s4, v65, 0x35930a14
	s_mov_b32 s4, 0xb00c3d32
	s_mov_b32 s5, 0xb25ebb25
	v_fmaak_f32 v70, s4, v65, 0x32ce461e
	v_rndne_f32_e32 v68, v66
	v_fmaak_f32 v67, v65, v67, 0xb72d9523
	v_fma_f32 v69, 0xbfb8aa3b, v65, -v66
	s_mov_b32 s6, 0xb21f8577
	v_fmaak_f32 v71, s5, v65, 0x33a65836
	v_sub_f32_e32 v66, v66, v68
	v_fmaak_f32 v67, v65, v67, 0x38ab321b
	v_fmamk_f32 v69, v65, 0xb2a5705f, v69
	v_fmaak_f32 v80, s6, v65, 0xb4a28ea1
	v_fmaak_f32 v70, v65, v70, 0xb5068207
	v_cvt_i32_f32_e32 v68, v68
	v_fmaak_f32 v67, v65, v67, 0xba11a0c3
	v_add_f32_e32 v66, v66, v69
	v_fmaak_f32 v69, v65, v71, 0x35d16908
	v_fmaak_f32 v71, v65, v80, 0xb62843db
	;; [unrolled: 1-line block ×4, first 2 shown]
	v_exp_f32_e32 v66, v66
	v_fmaak_f32 v69, v65, v69, 0xb7849568
	v_fmaak_f32 v71, v65, v71, 0xb6f5dcde
	;; [unrolled: 1-line block ×4, first 2 shown]
	v_cmp_nlt_f32_e32 vcc_lo, 0x42ce8ed0, v65
	v_fmaak_f32 v69, v65, v69, 0xb9ad3ff4
	v_fmaak_f32 v71, v65, v71, 0x39800a51
	;; [unrolled: 1-line block ×4, first 2 shown]
	v_ldexp_f32 v66, v66, v68
	v_fmaak_f32 v68, v65, v69, 0x3c1f9fb7
	v_fmaak_f32 v69, v65, v71, 0x3d4aa72f
	;; [unrolled: 1-line block ×4, first 2 shown]
	v_cndmask_b32_e32 v66, 0, v66, vcc_lo
	v_cmp_ngt_f32_e32 vcc_lo, 0xc2b17218, v65
	v_fmaak_f32 v68, v65, v68, 0xbdf4c255
	v_fmaak_f32 v69, v65, v69, 0xbf8334b6
	;; [unrolled: 1-line block ×4, first 2 shown]
	v_cndmask_b32_e32 v66, 0x7f800000, v66, vcc_lo
	v_add_f32_e32 v71, v65, v65
	v_fmaak_f32 v68, v65, v68, 0x3f46dde5
	v_fmaak_f32 v69, v65, v69, 0x40d535a8
	v_add_f32_e32 v80, 1.0, v67
	v_fma_f32 v65, v71, v70, v66
	v_add_f32_e32 v82, 1.0, v68
	v_add_f32_e32 v84, 1.0, v69
	v_div_scale_f32 v81, null, v80, v80, v67
	v_div_scale_f32 v83, null, 0x40400000, 0x40400000, v65
	;; [unrolled: 1-line block ×4, first 2 shown]
	v_rcp_f32_e32 v96, v83
	v_rcp_f32_e32 v85, v81
	;; [unrolled: 1-line block ×4, first 2 shown]
	v_div_scale_f32 v101, vcc_lo, v65, 0x40400000, v65
	v_fma_f32 v100, -v83, v96, 1.0
	v_fma_f32 v99, -v81, v85, 1.0
	;; [unrolled: 1-line block ×4, first 2 shown]
	v_fmac_f32_e32 v96, v100, v96
	v_fmac_f32_e32 v85, v99, v85
	v_div_scale_f32 v99, s4, v67, v80, v67
	v_fmac_f32_e32 v97, v102, v97
	v_div_scale_f32 v100, s5, v68, v82, v68
	v_fmac_f32_e32 v98, v103, v98
	v_mul_f32_e32 v103, v101, v96
	v_div_scale_f32 v102, s6, v69, v84, v69
	v_mul_f32_e32 v112, v99, v85
	v_mul_f32_e32 v113, v100, v97
	v_fma_f32 v115, -v83, v103, v101
	v_mul_f32_e32 v114, v102, v98
	v_fma_f32 v116, -v81, v112, v99
	v_fma_f32 v117, -v86, v113, v100
	v_fmac_f32_e32 v103, v115, v96
	v_fma_f32 v118, -v87, v114, v102
	v_fmac_f32_e32 v112, v116, v85
	v_fmac_f32_e32 v113, v117, v97
	v_fma_f32 v83, -v83, v103, v101
	v_fmac_f32_e32 v114, v118, v98
	v_fma_f32 v81, -v81, v112, v99
	v_fma_f32 v86, -v86, v113, v100
	v_div_fmas_f32 v83, v83, v96, v103
	s_mov_b32 vcc_lo, s4
	v_fma_f32 v87, -v87, v114, v102
	v_div_fmas_f32 v81, v81, v85, v112
	s_mov_b32 vcc_lo, s5
	v_div_fixup_f32 v65, v83, 0x40400000, v65
	v_div_fmas_f32 v85, v86, v97, v113
	s_mov_b32 vcc_lo, s6
	v_div_fixup_f32 v80, v81, v80, v67
	v_div_fmas_f32 v83, v87, v98, v114
	v_fmac_f32_e32 v66, v71, v65
	v_div_fixup_f32 v81, v85, v82, v68
	v_fma_f32 v70, -v80, v65, v70
	v_div_fixup_f32 v71, v83, v84, v69
	v_fma_f32 v65, -v80, v66, v65
	v_sub_f32_e32 v82, v71, v81
	v_sub_f32_e32 v83, v71, v80
	;; [unrolled: 1-line block ×3, first 2 shown]
	v_fma_f32 v81, -v81, v65, v70
	v_fma_f32 v65, v71, v65, -v70
	v_mul_f32_e32 v83, v82, v83
	v_mul_f32_e32 v70, v82, v80
	v_div_scale_f32 v71, null, v83, v83, v81
	v_div_scale_f32 v80, null, v70, v70, v65
	v_div_scale_f32 v87, vcc_lo, v81, v83, v81
	v_rcp_f32_e32 v82, v71
	v_rcp_f32_e32 v84, v80
	v_fma_f32 v85, -v71, v82, 1.0
	v_fma_f32 v86, -v80, v84, 1.0
	v_fmac_f32_e32 v82, v85, v82
	v_div_scale_f32 v85, s4, v65, v70, v65
	v_fmac_f32_e32 v84, v86, v84
	v_mul_f32_e32 v86, v87, v82
	v_mul_f32_e32 v96, v85, v84
	v_fma_f32 v97, -v71, v86, v87
	v_fma_f32 v98, -v80, v96, v85
	v_fmac_f32_e32 v86, v97, v82
	v_fmac_f32_e32 v96, v98, v84
	v_fma_f32 v71, -v71, v86, v87
	v_fma_f32 v80, -v80, v96, v85
	v_div_fmas_f32 v82, v71, v82, v86
	s_mov_b32 vcc_lo, s4
	v_div_fmas_f32 v71, v80, v84, v96
	v_div_fixup_f32 v71, v71, v70, v65
	v_div_fixup_f32 v70, v82, v83, v81
	v_sub_f32_e32 v65, v66, v71
	v_sub_f32_e32 v66, v65, v70
.LBB0_193:
	s_or_b32 exec_lo, exec_lo, s12
                                        ; implicit-def: $vgpr65
.LBB0_194:
	s_andn2_saveexec_b32 s4, s11
	s_cbranch_execz .LBB0_196
; %bb.195:
	s_mov_b32 s5, 0xb3b398d8
	v_mul_f32_e32 v66, 0xbfb8aa3b, v65
	v_fmaak_f32 v67, s5, v65, 0x35a2b3c5
	s_mov_b32 s5, 0xb121a6de
	s_mov_b32 s6, 0xb2d484ea
	v_fmaak_f32 v70, s5, v65, 0x32d609dd
	v_rndne_f32_e32 v68, v66
	v_fma_f32 v69, 0xbfb8aa3b, v65, -v66
	v_fmaak_f32 v67, v65, v67, 0xb7420cb6
	v_fmaak_f32 v71, s6, v65, 0x347e45d0
	v_cmp_nlt_f32_e32 vcc_lo, 0x42ce8ed0, v65
	v_sub_f32_e32 v66, v66, v68
	v_fmamk_f32 v69, v65, 0xb2a5705f, v69
	v_fmaak_f32 v67, v65, v67, 0x38c20728
	v_cvt_i32_f32_e32 v68, v68
	v_add_f32_e32 v66, v66, v69
	v_fmaak_f32 v67, v65, v67, 0xba280863
	v_fmaak_f32 v69, v65, v70, 0xb343c735
	;; [unrolled: 1-line block ×3, first 2 shown]
	v_add_f32_e32 v71, v65, v65
	v_exp_f32_e32 v66, v66
	v_fmaak_f32 v67, v65, v67, 0x3b783dec
	v_fmaak_f32 v69, v65, v69, 0xb6243b79
	;; [unrolled: 1-line block ×6, first 2 shown]
	v_ldexp_f32 v66, v66, v68
	v_fmaak_f32 v67, v65, v67, 0x3d924925
	v_fmaak_f32 v68, v65, v69, 0xba0bc56c
	;; [unrolled: 1-line block ×3, first 2 shown]
	v_cndmask_b32_e32 v66, 0, v66, vcc_lo
	v_fmaak_f32 v67, v65, v67, 0xbe4ccccd
	v_cmp_ngt_f32_e32 vcc_lo, 0xc2b17218, v65
	v_fmaak_f32 v68, v65, v68, 0x3b91b45c
	v_fmaak_f32 v69, v65, v69, 0x3d5a3552
	;; [unrolled: 1-line block ×3, first 2 shown]
	v_cndmask_b32_e32 v66, 0x7f800000, v66, vcc_lo
	v_fmaak_f32 v67, v65, v68, 0xbcedeba3
	v_fmaak_f32 v68, v65, v69, 0xbf233b4e
	v_fmac_f32_e32 v66, v71, v70
	v_fmaak_f32 v67, v65, v67, 0x3e05d48b
	v_fmaak_f32 v68, v65, v68, 0x4037a2b7
	v_sub_f32_e32 v65, v70, v66
	v_add_f32_e32 v69, 1.0, v68
	v_fmac_f32_e32 v70, v67, v65
	v_sub_f32_e32 v65, v68, v67
	v_mul_f32_e32 v69, v69, v70
	v_div_scale_f32 v70, null, v65, v65, v69
	v_div_scale_f32 v81, vcc_lo, v69, v65, v69
	v_rcp_f32_e32 v71, v70
	v_fma_f32 v80, -v70, v71, 1.0
	v_fmac_f32_e32 v71, v80, v71
	v_mul_f32_e32 v80, v81, v71
	v_fma_f32 v82, -v70, v80, v81
	v_fmac_f32_e32 v80, v82, v71
	v_fma_f32 v70, -v70, v80, v81
	v_div_fmas_f32 v70, v70, v71, v80
	v_div_fixup_f32 v71, v70, v65, v69
	v_mov_b32_e32 v70, 0
	v_mov_b32_e32 v69, 0
	v_sub_f32_e32 v66, v66, v71
.LBB0_196:
	s_or_b32 exec_lo, exec_lo, s4
                                        ; implicit-def: $vgpr65
.LBB0_197:
	s_andn2_saveexec_b32 s4, s10
	s_cbranch_execz .LBB0_201
; %bb.198:
	v_mov_b32_e32 v70, 0
	v_mov_b32_e32 v66, 0
	;; [unrolled: 1-line block ×3, first 2 shown]
	s_mov_b32 s5, exec_lo
	v_cmpx_eq_u32_e32 0, v9
	s_cbranch_execz .LBB0_200
; %bb.199:
	s_mov_b32 s6, 0xb3b398d8
	v_mul_f32_e32 v66, 0xbfb8aa3b, v65
	v_fmaak_f32 v67, s6, v65, 0x35a2b3c5
	v_cmp_nlt_f32_e32 vcc_lo, 0x42ce8ed0, v65
	v_rndne_f32_e32 v68, v66
	v_fma_f32 v69, 0xbfb8aa3b, v65, -v66
	v_fmaak_f32 v67, v65, v67, 0xb7420cb6
	v_sub_f32_e32 v66, v66, v68
	v_fmamk_f32 v69, v65, 0xb2a5705f, v69
	v_fmaak_f32 v67, v65, v67, 0x38c20728
	v_cvt_i32_f32_e32 v68, v68
	v_add_f32_e32 v66, v66, v69
	v_fmaak_f32 v67, v65, v67, 0xba280863
	v_exp_f32_e32 v66, v66
	v_fmaak_f32 v67, v65, v67, 0x3b783dec
	v_fmaak_f32 v67, v65, v67, 0xbc97b425
	v_ldexp_f32 v66, v66, v68
	v_fmaak_f32 v67, v65, v67, 0x3d924925
	v_add_f32_e32 v68, v65, v65
	v_cndmask_b32_e32 v66, 0, v66, vcc_lo
	v_fmaak_f32 v67, v65, v67, 0xbe4ccccd
	v_cmp_ngt_f32_e32 vcc_lo, 0xc2b17218, v65
	v_fmaak_f32 v65, v65, v67, 0x3eaaaaab
	v_cndmask_b32_e32 v66, 0x7f800000, v66, vcc_lo
	v_fmac_f32_e32 v66, v68, v65
	v_sub_f32_e32 v67, v66, v65
	v_div_scale_f32 v68, null, v67, v67, v65
	v_rcp_f32_e32 v69, v68
	v_fma_f32 v71, -v68, v69, 1.0
	v_fmac_f32_e32 v69, v71, v69
	v_div_scale_f32 v71, vcc_lo, v65, v67, v65
	v_mul_f32_e32 v80, v71, v69
	v_fma_f32 v81, -v68, v80, v71
	v_fmac_f32_e32 v80, v81, v69
	v_fma_f32 v68, -v68, v80, v71
	v_div_fmas_f32 v68, v68, v69, v80
	v_div_fixup_f32 v67, v68, v67, v65
.LBB0_200:
	s_or_b32 exec_lo, exec_lo, s5
	v_mov_b32_e32 v71, 0
	v_mov_b32_e32 v69, 0
	;; [unrolled: 1-line block ×3, first 2 shown]
.LBB0_201:
	s_or_b32 exec_lo, exec_lo, s4
	s_or_b32 exec_lo, exec_lo, s7
                                        ; implicit-def: $vgpr65
.LBB0_202:
	s_andn2_saveexec_b32 s5, s9
	s_cbranch_execz .LBB0_216
.LBB0_203:
	s_mov_b32 s4, exec_lo
                                        ; implicit-def: $vgpr70
                                        ; implicit-def: $vgpr71
                                        ; implicit-def: $vgpr66
                                        ; implicit-def: $vgpr69
                                        ; implicit-def: $vgpr68
                                        ; implicit-def: $vgpr67
	v_cmpx_lt_i32_e32 0, v9
	s_xor_b32 s4, exec_lo, s4
	s_cbranch_execz .LBB0_211
; %bb.204:
	s_mov_b32 s6, exec_lo
                                        ; implicit-def: $vgpr70
                                        ; implicit-def: $vgpr71
                                        ; implicit-def: $vgpr66
                                        ; implicit-def: $vgpr69
                                        ; implicit-def: $vgpr68
                                        ; implicit-def: $vgpr67
	v_cmpx_lt_i32_e32 1, v9
	s_xor_b32 s6, exec_lo, s6
	s_cbranch_execz .LBB0_208
; %bb.205:
	v_mov_b32_e32 v70, 0
	v_mov_b32_e32 v71, 0
	;; [unrolled: 1-line block ×6, first 2 shown]
	s_mov_b32 s7, exec_lo
	v_cmpx_eq_u32_e32 2, v9
	s_cbranch_execz .LBB0_207
; %bb.206:
	s_mov_b32 s9, 0xbc182fe0
	s_mov_b32 s10, 0xbdf4c255
	v_fmaak_f32 v67, s9, v65, 0x3d774dcb
	v_fmaak_f32 v68, s10, v65, 0x3f46dde5
	s_mov_b32 s9, 0xbf8334b6
	s_mov_b32 s10, 0xbd675fa3
	v_fmaak_f32 v69, s9, v65, 0x40d535a8
	v_fmaak_f32 v66, s10, v65, 0x3eef926a
	s_mov_b32 s9, 0xbe18a7b1
	s_mov_b32 s10, 0xbe02d5bc
	v_fmaak_f32 v71, s9, v65, 0x3eb8b5be
	v_fmaak_f32 v70, s10, v65, 0x3e2f6fb0
.LBB0_207:
	s_or_b32 exec_lo, exec_lo, s7
                                        ; implicit-def: $vgpr65
.LBB0_208:
	s_andn2_saveexec_b32 s6, s6
	s_cbranch_execz .LBB0_210
; %bb.209:
	s_mov_b32 s7, 0xbcedeba3
	s_mov_b32 s9, 0xbf233b4e
	v_fmaak_f32 v67, s7, v65, 0x3e05d48b
	v_fmaak_f32 v68, s9, v65, 0x4037a2b7
	s_mov_b32 s7, 0xbdfb5148
	s_mov_b32 s9, 0xbe57acb2
	v_fmaak_f32 v66, s7, v65, 0x3f26f2fc
	v_fmaak_f32 v71, s9, v65, 0x3eb21a08
	v_mov_b32_e32 v70, 0
	v_mov_b32_e32 v69, 0
.LBB0_210:
	s_or_b32 exec_lo, exec_lo, s6
                                        ; implicit-def: $vgpr65
.LBB0_211:
	s_andn2_saveexec_b32 s6, s4
	s_cbranch_execz .LBB0_215
; %bb.212:
	v_mov_b32_e32 v70, 0
	v_mov_b32_e32 v66, 0
	;; [unrolled: 1-line block ×3, first 2 shown]
	s_mov_b32 s7, exec_lo
	v_cmpx_eq_u32_e32 0, v9
	s_cbranch_execz .LBB0_214
; %bb.213:
	v_div_scale_f32 v66, null, 0xc0a00000, 0xc0a00000, v65
	v_div_scale_f32 v67, null, 0xc0400000, 0xc0400000, v65
	v_div_scale_f32 v81, vcc_lo, v65, 0xc0a00000, v65
	v_rcp_f32_e32 v68, v66
	v_rcp_f32_e32 v69, v67
	v_fma_f32 v71, -v66, v68, 1.0
	v_fma_f32 v80, -v67, v69, 1.0
	v_fmac_f32_e32 v68, v71, v68
	v_div_scale_f32 v71, s4, v65, 0xc0400000, v65
	v_fmac_f32_e32 v69, v80, v69
	v_mul_f32_e32 v80, v81, v68
	v_mul_f32_e32 v82, v71, v69
	v_fma_f32 v83, -v66, v80, v81
	v_fma_f32 v84, -v67, v82, v71
	v_fmac_f32_e32 v80, v83, v68
	v_fmac_f32_e32 v82, v84, v69
	v_fma_f32 v66, -v66, v80, v81
	v_fma_f32 v67, -v67, v82, v71
	v_div_fmas_f32 v66, v66, v68, v80
	s_mov_b32 vcc_lo, s4
	v_div_fmas_f32 v67, v67, v69, v82
	v_div_fixup_f32 v66, v66, 0xc0a00000, v65
	v_div_fixup_f32 v65, v67, 0xc0400000, v65
	v_add_f32_e32 v67, 0.5, v66
	v_add_f32_e32 v66, 1.0, v65
.LBB0_214:
	s_or_b32 exec_lo, exec_lo, s7
	v_mov_b32_e32 v71, 0
	v_mov_b32_e32 v69, 0
	;; [unrolled: 1-line block ×3, first 2 shown]
.LBB0_215:
	s_or_b32 exec_lo, exec_lo, s6
.LBB0_216:
	s_or_b32 exec_lo, exec_lo, s5
	s_mov_b32 s4, exec_lo
	buffer_store_dword v67, off, s[0:3], s32
	buffer_store_dword v66, off, s[0:3], s32 offset:32
	v_cmpx_lt_i32_e32 1, v64
	s_cbranch_execz .LBB0_218
; %bb.217:
	buffer_store_dword v68, off, s[0:3], s32 offset:4
	buffer_store_dword v71, off, s[0:3], s32 offset:36
.LBB0_218:
	s_or_b32 exec_lo, exec_lo, s4
	s_mov_b32 s4, exec_lo
	v_cmpx_lt_i32_e32 3, v64
	s_cbranch_execz .LBB0_220
; %bb.219:
	buffer_store_dword v69, off, s[0:3], s32 offset:8
	buffer_store_dword v70, off, s[0:3], s32 offset:40
.LBB0_220:
	s_or_b32 exec_lo, exec_lo, s4
.LBB0_221:
	s_or_b32 exec_lo, exec_lo, s8
	v_cmp_lt_i32_e32 vcc_lo, -2, v64
	v_mov_b32_e32 v64, 0
	s_and_saveexec_b32 s57, vcc_lo
	s_cbranch_execz .LBB0_363
; %bb.222:
	v_mul_f32_e32 v51, v52, v51
	v_div_scale_f32 v52, null, v20, v20, 0.5
	v_mul_f32_e64 v38, v38, -v37
	v_div_scale_f32 v64, null, v27, v27, 0.5
	v_div_scale_f32 v65, null, v27, v27, v51
	v_rcp_f32_e32 v66, v52
	v_div_scale_f32 v68, null, v20, v20, v38
	v_rcp_f32_e32 v69, v65
	v_rcp_f32_e32 v67, v64
	v_div_scale_f32 v71, s4, 0.5, v20, 0.5
	v_rcp_f32_e32 v70, v68
	v_div_scale_f32 v82, vcc_lo, v51, v27, v51
	v_fma_f32 v37, -v52, v66, 1.0
	v_sub_f32_e32 v34, v32, v34
	v_sub_f32_e32 v33, v26, v33
	v_fma_f32 v81, -v65, v69, 1.0
	v_fma_f32 v80, -v64, v67, 1.0
	v_fmac_f32_e32 v66, v37, v66
	v_sub_f32_e32 v31, v24, v31
	v_fma_f32 v37, -v68, v70, 1.0
	v_fmac_f32_e32 v69, v81, v69
	v_fmac_f32_e32 v67, v80, v67
	v_div_scale_f32 v80, s5, 0.5, v27, 0.5
	v_mul_f32_e32 v83, v71, v66
	v_mul_f32_e32 v84, v82, v69
	v_fmac_f32_e32 v70, v37, v70
	v_div_scale_f32 v81, s6, v38, v20, v38
	v_mul_f32_e32 v85, v80, v67
	v_fma_f32 v37, -v52, v83, v71
	v_fma_f32 v87, -v65, v84, v82
	v_mul_f32_e32 v86, v81, v70
	v_sub_f32_e32 v29, v0, v29
	v_fma_f32 v96, -v64, v85, v80
	v_fmac_f32_e32 v83, v37, v66
	v_fmac_f32_e32 v84, v87, v69
	v_fma_f32 v97, -v68, v86, v81
	v_sub_f32_e32 v37, v39, v49
	v_fmac_f32_e32 v85, v96, v67
	v_fma_f32 v49, -v52, v83, v71
	v_fma_f32 v52, -v65, v84, v82
	v_fmac_f32_e32 v86, v97, v70
	v_sub_f32_e32 v30, v16, v30
	v_fma_f32 v64, -v64, v85, v80
	v_cmp_eq_f32_e64 s11, 1.0, v34
	v_div_fmas_f32 v52, v52, v69, v84
	s_mov_b32 vcc_lo, s4
	v_fma_f32 v65, -v68, v86, v81
	v_div_fmas_f32 v66, v49, v66, v83
	s_mov_b32 vcc_lo, s5
	v_div_fixup_f32 v52, v52, v27, v51
	v_div_fmas_f32 v67, v64, v67, v85
	s_mov_b32 vcc_lo, s6
	v_mul_f32_e32 v51, 0x4f800000, v53
	v_div_fmas_f32 v49, v65, v70, v86
	v_cmp_gt_f32_e32 vcc_lo, 0xf800000, v53
	v_mul_f32_e32 v65, v37, v52
	s_lshr_b32 s4, s32, 5
	v_mul_f32_e32 v83, v33, v52
	v_div_fixup_f32 v68, v49, v20, v38
	v_cndmask_b32_e32 v53, v53, v51, vcc_lo
	v_mul_f32_e32 v65, v37, v65
	v_sub_f32_e32 v51, v54, v32
	v_sub_f32_e32 v54, v54, v39
	v_mul_f32_e32 v69, v34, v68
	v_sqrt_f32_e32 v70, v53
	s_add_i32 s4, s4, 64
	v_mul_f32_e32 v52, v30, v52
	s_or_b32 s59, s4, 4
	v_fma_f32 v65, v34, v69, -v65
	v_sub_f32_e32 v69, v55, v32
	v_sub_f32_e32 v32, v55, v39
	v_mul_f32_e32 v52, v30, v52
	v_add_nc_u32_e32 v38, v1, v25
	v_mul_f32_e32 v39, 0x3fb8aa3b, v65
	v_add_nc_u32_e32 v55, -1, v70
	v_add_nc_u32_e32 v81, 1, v70
	v_add_nc_u32_e32 v49, v4, v28
	v_lshlrev_b32_e32 v28, 2, v28
	v_fma_f32 v71, 0x3fb8aa3b, v65, -v39
	v_rndne_f32_e32 v80, v39
	v_fma_f32 v82, -v55, v70, v53
	v_fma_f32 v84, -v81, v70, v53
	v_cmp_lt_i32_e64 s7, 0, v38
	v_fmac_f32_e32 v71, 0x32a5705f, v65
	v_sub_f32_e32 v39, v39, v80
	v_cmp_ge_f32_e64 s4, 0, v82
	v_cmp_lt_f32_e64 s5, 0, v84
	v_cvt_i32_f32_e32 v80, v80
	v_cmp_lt_i32_e64 s8, 0, v49
	v_add_f32_e32 v39, v39, v71
	v_cndmask_b32_e64 v55, v70, v55, s4
	v_mul_f32_e32 v70, v33, v83
	v_mul_f32_e32 v71, v31, v68
	v_mov_b32_e32 v64, 0
	v_exp_f32_e32 v39, v39
	v_cndmask_b32_e64 v55, v55, v81, s5
	v_cmp_lt_i32_e64 s4, -1, v4
	v_fma_f32 v70, v31, v71, -v70
	v_cmp_lt_i32_e64 s5, -1, v1
	v_cmp_lt_i32_e64 s6, 1, v1
	v_mul_f32_e32 v71, 0x37800000, v55
	v_cmp_lt_i32_e64 s9, 1, v38
	v_mul_f32_e32 v81, 0x3fb8aa3b, v70
	v_cmp_lt_i32_e64 s10, 1, v49
	v_ldexp_f32 v39, v39, v80
	v_cndmask_b32_e32 v55, v55, v71, vcc_lo
	v_cmp_ngt_f32_e32 vcc_lo, 0xc2ce8ed0, v65
	v_fma_f32 v71, 0x3fb8aa3b, v70, -v81
	v_rndne_f32_e32 v80, v81
	v_cmp_eq_f32_e64 s13, 1.0, v37
	v_cmp_lt_i32_e64 s18, -1, v5
	v_cndmask_b32_e32 v39, 0, v39, vcc_lo
	v_fmac_f32_e32 v71, 0x32a5705f, v70
	v_sub_f32_e32 v81, v81, v80
	v_cmp_nlt_f32_e32 vcc_lo, 0x42b17218, v65
	v_mul_f32_e32 v65, v29, v68
	v_cmp_lt_i32_e64 s19, -1, v2
	v_cmp_lt_i32_e64 s20, 1, v2
	v_add_f32_e32 v68, v81, v71
	v_cndmask_b32_e32 v39, 0x7f800000, v39, vcc_lo
	v_cmp_class_f32_e64 vcc_lo, v53, 0x260
	v_fma_f32 v65, v29, v65, -v52
	v_cvt_i32_f32_e32 v52, v80
	v_mul_lo_u32 v81, v25, 28
	v_mul_f32_e32 v25, v27, v69
	v_cndmask_b32_e32 v71, v55, v53, vcc_lo
	v_mul_f32_e32 v55, 0x40490fdb, v39
	v_exp_f32_e32 v53, v68
	v_mul_f32_e32 v69, 0x3fb8aa3b, v65
	v_cmp_ngt_f32_e32 vcc_lo, 0xc2ce8ed0, v70
	v_mul_f32_e32 v39, v27, v32
	v_div_scale_f32 v68, null, v71, v71, v55
	v_rndne_f32_e32 v82, v69
	v_cmp_ngt_f32_e64 s12, 0xc2ce8ed0, v65
	v_fmac_f32_e32 v39, v20, v54
	v_rcp_f32_e32 v80, v68
	v_ldexp_f32 v52, v53, v52
	v_fma_f32 v53, 0x3fb8aa3b, v65, -v69
	v_sub_f32_e32 v69, v69, v82
	v_cvt_i32_f32_e32 v82, v82
	v_fmac_f32_e32 v25, v20, v51
	v_cndmask_b32_e32 v52, 0, v52, vcc_lo
	v_cmp_nlt_f32_e32 vcc_lo, 0x42b17218, v70
	v_fmac_f32_e32 v53, 0x32a5705f, v65
	v_cmp_eq_f32_e64 s21, 1.0, v31
	v_fma_f32 v83, -v68, v80, 1.0
	v_cmp_lt_u32_e64 s22, 1, v5
	v_cndmask_b32_e32 v52, 0x7f800000, v52, vcc_lo
	v_div_scale_f32 v70, vcc_lo, v55, v71, v55
	v_fmac_f32_e32 v80, v83, v80
	v_add_f32_e32 v53, v69, v53
	v_mul_f32_e32 v69, 0x40490fdb, v52
	v_cmp_eq_f32_e64 s23, 1.0, v33
	v_cmp_lt_i32_e64 s28, -1, v6
	v_mul_f32_e32 v83, v70, v80
	v_exp_f32_e32 v52, v53
	v_div_scale_f32 v84, null, v71, v71, v69
	v_cmp_lt_i32_e64 s29, -1, v3
	v_fma_f32 v53, -v68, v83, v70
	v_cmp_lt_i32_e64 s40, 1, v3
	v_rcp_f32_e32 v85, v84
	v_cmp_eq_f32_e64 s41, 1.0, v29
	v_cmp_lt_u32_e64 s42, 1, v6
	v_fmac_f32_e32 v83, v53, v80
	v_ldexp_f32 v54, v52, v82
	v_div_fixup_f32 v52, v66, v20, 0.5
	v_div_fixup_f32 v53, v67, v27, 0.5
	v_sub_f32_e32 v82, v36, v0
	v_fma_f32 v66, -v68, v83, v70
	v_cndmask_b32_e64 v54, 0, v54, s12
	v_fma_f32 v67, -v84, v85, 1.0
	v_cmp_nlt_f32_e64 s12, 0x42b17218, v65
	v_cmp_eq_f32_e64 s43, 1.0, v30
	v_div_fmas_f32 v66, v66, v80, v83
	v_div_scale_f32 v68, vcc_lo, v69, v71, v69
	v_fmac_f32_e32 v85, v67, v85
	v_cndmask_b32_e64 v65, 0x7f800000, v54, s12
	v_div_fixup_f32 v54, v66, v71, v55
	v_lshrrev_b32_e64 v55, 5, s32
	v_sub_f32_e32 v66, v50, v24
	v_mul_f32_e32 v67, v68, v85
	v_mul_f32_e32 v70, 0x40490fdb, v65
	v_sub_f32_e32 v50, v50, v26
	v_add_nc_u32_e32 v55, 64, v55
	v_sub_f32_e32 v24, v48, v24
	v_fma_f32 v65, -v84, v67, v68
	v_div_scale_f32 v80, null, v71, v71, v70
	v_add3_u32 v28, v55, v28, v81
	v_sub_f32_e32 v48, v48, v26
	v_fmac_f32_e32 v67, v65, v85
	v_rcp_f32_e32 v81, v80
	v_mul_f32_e32 v65, v27, v66
	v_mul_f32_e32 v66, v27, v50
	v_add_nc_u32_e32 v55, v2, v17
	v_fma_f32 v68, -v84, v67, v68
	v_add_nc_u32_e32 v26, v5, v21
	v_lshlrev_b32_e32 v21, 2, v21
	v_fmac_f32_e32 v66, v20, v48
	v_fmac_f32_e32 v65, v20, v24
	v_div_fmas_f32 v67, v68, v85, v67
	v_fma_f32 v68, -v80, v81, 1.0
	v_cmp_lt_i32_e64 s14, 0, v55
	v_cmp_lt_i32_e64 s15, 0, v26
	v_cmp_lt_u32_e64 s12, 1, v4
	v_div_fixup_f32 v48, v67, v71, v69
	v_fmac_f32_e32 v81, v68, v81
	v_div_scale_f32 v68, vcc_lo, v70, v71, v70
	v_mul_lo_u32 v67, v17, 28
	v_cmp_lt_i32_e64 s16, 1, v55
	v_cmp_lt_i32_e64 s17, 1, v26
	v_mul_f32_e32 v69, v68, v81
	s_mov_b32 s58, 0
	s_and_b32 s60, s7, s8
	s_and_b32 s61, s14, s15
	s_mov_b32 s63, 0x3e76c4e1
	v_fma_f32 v17, -v80, v69, v68
	s_mov_b32 s72, 0
	v_fmac_f32_e32 v69, v17, v81
	v_sub_f32_e32 v17, v36, v16
	v_lshrrev_b32_e64 v36, 5, s32
	v_add_nc_u32_e32 v36, 64, v36
	v_add3_u32 v21, v36, v21, v67
	v_sub_f32_e32 v36, v35, v0
	v_fma_f32 v0, -v80, v69, v68
	v_mul_f32_e32 v67, v27, v82
	v_mul_f32_e32 v27, v27, v17
	v_sub_f32_e32 v68, v35, v16
	v_add_nc_u32_e32 v16, v3, v12
	v_div_fmas_f32 v0, v0, v81, v69
	v_add_nc_u32_e32 v35, v6, v13
	v_fmac_f32_e32 v67, v20, v36
	v_fmac_f32_e32 v27, v20, v68
	v_cmp_lt_i32_e64 s24, 0, v16
	v_div_fixup_f32 v20, v0, v71, v70
	v_mul_lo_u32 v0, v12, 28
	v_lshlrev_b32_e32 v12, 2, v13
	v_lshrrev_b32_e64 v13, 5, s32
	v_cmp_lt_i32_e64 s25, 0, v35
	v_cmp_lt_i32_e64 s26, 1, v16
	;; [unrolled: 1-line block ×3, first 2 shown]
	v_add_nc_u32_e32 v68, -1, v4
	v_add_nc_u32_e32 v13, 64, v13
	v_add_nc_u32_e32 v69, -1, v2
	v_add_nc_u32_e32 v70, -1, v5
	;; [unrolled: 1-line block ×4, first 2 shown]
	v_add3_u32 v12, v13, v12, v0
	v_add_nc_u32_e32 v13, -1, v1
	s_and_b32 s62, s24, s25
	s_branch .LBB0_225
.LBB0_223:                              ;   in Loop: Header=BB0_225 Depth=1
	s_or_b32 exec_lo, exec_lo, s75
.LBB0_224:                              ;   in Loop: Header=BB0_225 Depth=1
	s_or_b32 exec_lo, exec_lo, s74
	v_lshrrev_b32_e64 v83, 5, s32
	v_mul_f32_e32 v81, v81, v86
	v_cmp_eq_u32_e32 vcc_lo, s72, v9
	s_add_i32 s72, s72, 1
	v_add_nc_u32_e32 v0, s73, v83
	v_mul_f32_e32 v81, v81, v82
	s_or_b32 s58, vcc_lo, s58
	v_add_nc_u32_e32 v0, 32, v0
	buffer_load_dword v0, v0, s[0:3], 0 offen
	s_waitcnt vmcnt(0)
	v_fmac_f32_e32 v64, v81, v0
	s_andn2_b32 exec_lo, exec_lo, s58
	s_cbranch_execz .LBB0_362
.LBB0_225:                              ; =>This Loop Header: Depth=1
                                        ;     Child Loop BB0_231 Depth 2
                                        ;     Child Loop BB0_234 Depth 2
                                        ;     Child Loop BB0_238 Depth 2
                                        ;       Child Loop BB0_240 Depth 3
                                        ;     Child Loop BB0_244 Depth 2
                                        ;       Child Loop BB0_247 Depth 3
                                        ;         Child Loop BB0_249 Depth 4
                                        ;         Child Loop BB0_253 Depth 4
                                        ;         Child Loop BB0_256 Depth 4
                                        ;       Child Loop BB0_260 Depth 3
                                        ;       Child Loop BB0_265 Depth 3
                                        ;       Child Loop BB0_268 Depth 3
                                        ;     Child Loop BB0_277 Depth 2
                                        ;     Child Loop BB0_280 Depth 2
                                        ;     Child Loop BB0_284 Depth 2
                                        ;       Child Loop BB0_286 Depth 3
                                        ;     Child Loop BB0_290 Depth 2
                                        ;       Child Loop BB0_293 Depth 3
                                        ;         Child Loop BB0_295 Depth 4
                                        ;         Child Loop BB0_299 Depth 4
                                        ;         Child Loop BB0_302 Depth 4
                                        ;       Child Loop BB0_306 Depth 3
                                        ;       Child Loop BB0_311 Depth 3
                                        ;       Child Loop BB0_314 Depth 3
	;; [unrolled: 12-line block ×3, first 2 shown]
	v_lshrrev_b32_e64 v81, 5, s32
	s_lshl_b32 s73, s72, 2
	buffer_store_dword v54, off, s[0:3], s32 offset:64
	v_add_nc_u32_e32 v0, s73, v81
	buffer_load_dword v0, v0, s[0:3], 0 offen
	s_waitcnt vmcnt(0)
	v_add_f32_e32 v81, 1.0, v0
	v_mul_f32_e32 v0, 0.5, v0
	v_div_scale_f32 v82, null, v81, v81, 1.0
	v_div_scale_f32 v83, null, v7, v7, v0
	v_div_scale_f32 v96, vcc_lo, 1.0, v81, 1.0
	v_rcp_f32_e32 v84, v82
	v_rcp_f32_e32 v85, v83
	v_fma_f32 v86, -v82, v84, 1.0
	v_fma_f32 v87, -v83, v85, 1.0
	v_fmac_f32_e32 v84, v86, v84
	v_div_scale_f32 v86, s44, v0, v7, v0
	v_fmac_f32_e32 v85, v87, v85
	v_mul_f32_e32 v87, v96, v84
	v_mul_f32_e32 v97, v86, v85
	v_fma_f32 v98, -v82, v87, v96
	v_fma_f32 v99, -v83, v97, v86
	v_fmac_f32_e32 v87, v98, v84
	v_fmac_f32_e32 v97, v99, v85
	v_fma_f32 v82, -v82, v87, v96
	v_fma_f32 v83, -v83, v97, v86
	v_div_fmas_f32 v82, v82, v84, v87
	s_mov_b32 vcc_lo, s44
	v_div_fmas_f32 v83, v83, v85, v97
	v_div_fixup_f32 v85, v82, v81, 1.0
	v_div_fixup_f32 v0, v83, v7, v0
	v_mul_f32_e32 v82, v0, v85
	v_mul_f32_e32 v0, v51, v85
	v_mul_f32_e32 v81, v25, v82
	v_cvt_f64_f32_e32 v[83:84], v0
	v_cvt_f64_f32_e32 v[86:87], v81
	v_fma_f64 v[83:84], v[86:87], 2.0, v[83:84]
	v_cvt_f32_f64_e32 v81, v[83:84]
	s_and_saveexec_b32 s44, s7
	s_cbranch_execz .LBB0_227
; %bb.226:                              ;   in Loop: Header=BB0_225 Depth=1
	v_mul_f32_e32 v0, v54, v81
	buffer_store_dword v0, off, s[0:3], s32 offset:92
.LBB0_227:                              ;   in Loop: Header=BB0_225 Depth=1
	s_or_b32 exec_lo, exec_lo, s44
	v_mul_f32_e32 v0, v32, v85
	v_mul_f32_e32 v86, v39, v82
	v_cvt_f64_f32_e32 v[83:84], v0
	v_cvt_f64_f32_e32 v[86:87], v86
	v_fma_f64 v[83:84], v[86:87], 2.0, v[83:84]
	v_cvt_f32_f64_e32 v0, v[83:84]
	s_and_saveexec_b32 s44, s8
	s_cbranch_execz .LBB0_229
; %bb.228:                              ;   in Loop: Header=BB0_225 Depth=1
	v_mul_f32_e32 v83, v54, v0
	buffer_store_dword v83, off, s[0:3], s32 offset:68
.LBB0_229:                              ;   in Loop: Header=BB0_225 Depth=1
	s_or_b32 exec_lo, exec_lo, s44
	v_fma_f32 v84, v52, v85, v82
	s_and_saveexec_b32 s44, s9
	s_cbranch_execz .LBB0_232
; %bb.230:                              ;   in Loop: Header=BB0_225 Depth=1
	buffer_load_dword v83, off, s[0:3], s32 offset:92
	s_lshr_b32 s45, s32, 5
	s_mov_b32 s46, 1
	s_add_i32 s45, s45, 64
	s_mov_b32 s47, 0
.LBB0_231:                              ;   Parent Loop BB0_225 Depth=1
                                        ; =>  This Inner Loop Header: Depth=2
	v_mov_b32_e32 v86, s45
	v_cvt_f32_i32_e32 v96, s46
	s_add_i32 s46, s46, 1
	s_add_i32 s45, s45, 28
	v_cmp_eq_u32_e32 vcc_lo, s46, v38
	buffer_load_dword v87, v86, s[0:3], 0 offen
	v_mul_f32_e32 v96, v84, v96
	s_or_b32 s47, vcc_lo, s47
	s_waitcnt vmcnt(0)
	v_mul_f32_e32 v87, v87, v96
	v_fmac_f32_e32 v87, v83, v81
	v_mov_b32_e32 v83, v87
	buffer_store_dword v87, v86, s[0:3], 0 offen offset:56
	s_andn2_b32 exec_lo, exec_lo, s47
	s_cbranch_execnz .LBB0_231
.LBB0_232:                              ;   in Loop: Header=BB0_225 Depth=1
	s_or_b32 exec_lo, exec_lo, s44
	v_fma_f32 v83, v53, v85, v82
	s_and_saveexec_b32 s44, s10
	s_cbranch_execz .LBB0_235
; %bb.233:                              ;   in Loop: Header=BB0_225 Depth=1
	buffer_load_dword v81, off, s[0:3], s32 offset:68
	s_lshr_b32 s45, s32, 5
	s_mov_b32 s46, 1
	s_add_i32 s45, s45, 64
	s_mov_b32 s47, 0
.LBB0_234:                              ;   Parent Loop BB0_225 Depth=1
                                        ; =>  This Inner Loop Header: Depth=2
	v_mov_b32_e32 v86, s45
	v_cvt_f32_i32_e32 v96, s46
	s_add_i32 s46, s46, 1
	s_add_i32 s45, s45, 4
	v_cmp_eq_u32_e32 vcc_lo, s46, v49
	buffer_load_dword v87, v86, s[0:3], 0 offen
	v_mul_f32_e32 v96, v83, v96
	s_or_b32 s47, vcc_lo, s47
	s_waitcnt vmcnt(0)
	v_mul_f32_e32 v87, v87, v96
	v_fmac_f32_e32 v87, v81, v0
	v_mov_b32_e32 v81, v87
	buffer_store_dword v87, v86, s[0:3], 0 offen offset:8
	s_andn2_b32 exec_lo, exec_lo, s47
	s_cbranch_execnz .LBB0_234
.LBB0_235:                              ;   in Loop: Header=BB0_225 Depth=1
	s_or_b32 exec_lo, exec_lo, s44
	s_and_saveexec_b32 s44, s60
	s_cbranch_execz .LBB0_241
; %bb.236:                              ;   in Loop: Header=BB0_225 Depth=1
	s_mov_b32 s47, 1
	s_mov_b32 s45, 0
	;; [unrolled: 1-line block ×3, first 2 shown]
	s_branch .LBB0_238
.LBB0_237:                              ;   in Loop: Header=BB0_238 Depth=2
	s_or_b32 exec_lo, exec_lo, s56
	v_cmp_eq_u32_e32 vcc_lo, s47, v38
	s_add_i32 s47, s47, 1
	s_add_i32 s46, s46, 28
	s_or_b32 s45, vcc_lo, s45
	s_andn2_b32 exec_lo, exec_lo, s45
	s_cbranch_execz .LBB0_241
.LBB0_238:                              ;   Parent Loop BB0_225 Depth=1
                                        ; =>  This Loop Header: Depth=2
                                        ;       Child Loop BB0_240 Depth 3
	s_mul_i32 s56, s47, 28
	s_lshr_b32 s74, s32, 5
	s_add_i32 s56, s74, s56
	s_add_i32 s56, s56, 64
	v_mov_b32_e32 v87, s56
	s_sub_i32 s56, s56, 28
	v_mov_b32_e32 v81, s56
	s_clause 0x1
	buffer_load_dword v86, v87, s[0:3], 0 offen
	buffer_load_dword v96, v81, s[0:3], 0 offen
	v_cvt_f32_u32_e32 v81, s47
	v_mul_f32_e32 v81, v82, v81
	s_waitcnt vmcnt(1)
	v_mul_f32_e32 v86, v86, v0
	s_waitcnt vmcnt(0)
	v_fmac_f32_e32 v86, v96, v81
	buffer_store_dword v86, v87, s[0:3], 0 offen offset:4
	s_and_saveexec_b32 s56, s10
	s_cbranch_execz .LBB0_237
; %bb.239:                              ;   in Loop: Header=BB0_238 Depth=2
	s_mov_b32 s74, 1
	s_mov_b32 s75, 0
	;; [unrolled: 1-line block ×3, first 2 shown]
	.p2align	6
.LBB0_240:                              ;   Parent Loop BB0_225 Depth=1
                                        ;     Parent Loop BB0_238 Depth=2
                                        ; =>    This Inner Loop Header: Depth=3
	v_mov_b32_e32 v87, s76
	v_cvt_f32_i32_e32 v98, s74
	s_add_i32 s74, s74, 1
	s_add_i32 s76, s76, 4
	v_cmp_eq_u32_e32 vcc_lo, s74, v49
	s_clause 0x1
	buffer_load_dword v96, v87, s[0:3], 0 offen offset:24
	buffer_load_dword v97, v87, s[0:3], 0 offen
	v_mul_f32_e32 v98, v83, v98
	s_or_b32 s75, vcc_lo, s75
	s_waitcnt vmcnt(1)
	v_mul_f32_e32 v96, v96, v98
	s_waitcnt vmcnt(0)
	v_fmac_f32_e32 v96, v81, v97
	v_fmac_f32_e32 v96, v86, v0
	v_mov_b32_e32 v86, v96
	buffer_store_dword v96, v87, s[0:3], 0 offen offset:32
	s_andn2_b32 exec_lo, exec_lo, s75
	s_cbranch_execnz .LBB0_240
	s_branch .LBB0_237
.LBB0_241:                              ;   in Loop: Header=BB0_225 Depth=1
	s_or_b32 exec_lo, exec_lo, s44
	v_mov_b32_e32 v81, 0
	s_and_saveexec_b32 s47, s4
	s_cbranch_execz .LBB0_271
; %bb.242:                              ;   in Loop: Header=BB0_225 Depth=1
	v_mov_b32_e32 v81, 0
	v_mov_b32_e32 v86, v68
	s_mov_b32 s56, 0
	s_mov_b32 s74, 0
	s_branch .LBB0_244
.LBB0_243:                              ;   in Loop: Header=BB0_244 Depth=2
	s_or_b32 exec_lo, exec_lo, s45
	v_mul_lo_u32 v97, v97, s44
	v_sub_nc_u32_e32 v99, 0, v0
	v_cvt_f32_i32_e32 v96, v96
	v_add_nc_u32_e32 v86, -1, v86
	v_xor_b32_e32 v98, v0, v97
	v_max_i32_e32 v0, v0, v99
	v_sub_nc_u32_e32 v99, 0, v97
	v_ashrrev_i32_e32 v98, 31, v98
	v_max_i32_e32 v97, v97, v99
	v_cvt_f32_u32_e32 v99, v97
	v_sub_nc_u32_e32 v100, 0, v97
	v_rcp_iflag_f32_e32 v99, v99
	v_mul_f32_e32 v99, 0x4f7ffffe, v99
	v_cvt_u32_f32_e32 v99, v99
	v_mul_lo_u32 v100, v100, v99
	v_mul_hi_u32 v100, v99, v100
	v_add_nc_u32_e32 v99, v99, v100
	v_mul_hi_u32 v99, v0, v99
	v_mul_lo_u32 v100, v99, v97
	v_sub_nc_u32_e32 v0, v0, v100
	v_add_nc_u32_e32 v100, 1, v99
	v_cmp_ge_u32_e32 vcc_lo, v0, v97
	v_cndmask_b32_e32 v99, v99, v100, vcc_lo
	v_sub_nc_u32_e32 v100, v0, v97
	v_cndmask_b32_e32 v0, v0, v100, vcc_lo
	v_cmp_ge_u32_e32 vcc_lo, v0, v97
	v_add_nc_u32_e32 v0, 1, v99
	v_cndmask_b32_e64 v97, v96, 1.0, s13
	v_cndmask_b32_e32 v0, v99, v0, vcc_lo
	v_cmp_neq_f32_e32 vcc_lo, 0, v97
	v_cmp_gt_f32_e64 s46, 0, v97
	v_xor_b32_e32 v0, v0, v98
	v_cndmask_b32_e32 v96, 1.0, v37, vcc_lo
	v_sub_nc_u32_e32 v0, v0, v98
	v_frexp_mant_f32_e64 v98, |v96|
	v_cmp_gt_f32_e64 s45, 0, v96
	v_cvt_f32_i32_e32 v0, v0
	v_cmp_gt_f32_e32 vcc_lo, 0x3f2aaaab, v98
	v_cndmask_b32_e64 v99, 1.0, 2.0, vcc_lo
	v_mul_f32_e32 v98, v98, v99
	v_add_f32_e32 v100, 1.0, v98
	v_add_f32_e32 v99, -1.0, v98
	v_add_f32_e32 v101, -1.0, v100
	v_sub_f32_e32 v98, v98, v101
	v_rcp_f32_e32 v101, v100
	v_mul_f32_e32 v102, v99, v101
	v_mul_f32_e32 v103, v100, v102
	v_fma_f32 v100, v102, v100, -v103
	v_fmac_f32_e32 v100, v102, v98
	v_add_f32_e32 v98, v103, v100
	v_sub_f32_e32 v112, v99, v98
	v_sub_f32_e32 v103, v98, v103
	;; [unrolled: 1-line block ×5, first 2 shown]
	v_add_f32_e32 v98, v99, v98
	v_add_f32_e32 v98, v112, v98
	v_mul_f32_e32 v98, v101, v98
	v_add_f32_e32 v100, v102, v98
	v_sub_f32_e32 v99, v100, v102
	v_sub_f32_e32 v101, v98, v99
	v_mul_f32_e32 v98, v100, v100
	v_add_f32_e32 v102, v101, v101
	v_fma_f32 v99, v100, v100, -v98
	v_fmac_f32_e32 v99, v100, v102
	v_add_f32_e32 v102, v98, v99
	v_sub_f32_e32 v98, v102, v98
	v_fmaak_f32 v103, s63, v102, 0x3e91f4c4
	v_sub_f32_e32 v98, v99, v98
	v_mul_f32_e32 v99, v100, v102
	v_fmaak_f32 v103, v102, v103, 0x3ecccdef
	v_fma_f32 v112, v102, v100, -v99
	v_fmac_f32_e32 v112, v102, v101
	v_fmac_f32_e32 v112, v98, v100
	v_ldexp_f32 v100, v100, 1
	v_add_f32_e32 v113, v99, v112
	v_sub_f32_e32 v99, v113, v99
	v_sub_f32_e32 v99, v112, v99
	v_mul_f32_e32 v112, v102, v103
	v_fma_f32 v102, v102, v103, -v112
	v_fmac_f32_e32 v102, v98, v103
	v_add_f32_e32 v98, v112, v102
	v_add_f32_e32 v103, 0x3f2aaaaa, v98
	v_sub_f32_e32 v112, v98, v112
	v_sub_f32_e32 v102, v102, v112
	v_add_f32_e32 v112, 0xbf2aaaaa, v103
	v_add_f32_e32 v102, 0x31739010, v102
	v_sub_f32_e32 v98, v98, v112
	v_add_f32_e32 v98, v102, v98
	v_add_f32_e32 v102, v103, v98
	v_sub_f32_e32 v103, v103, v102
	v_add_f32_e32 v98, v98, v103
	v_mul_f32_e32 v103, v113, v102
	v_fma_f32 v112, v113, v102, -v103
	v_fmac_f32_e32 v112, v113, v98
	v_fmac_f32_e32 v112, v99, v102
	v_cvt_f64_f32_e64 v[98:99], |v96|
	v_frexp_exp_i32_f64_e32 v98, v[98:99]
	v_subrev_co_ci_u32_e64 v98, null, 0, v98, vcc_lo
	v_cvt_f32_i32_e32 v98, v98
	v_mul_f32_e32 v99, 0x3f317218, v98
	v_fma_f32 v102, 0x3f317218, v98, -v99
	v_fmac_f32_e32 v102, 0xb102e308, v98
	v_ldexp_f32 v98, v101, 1
	v_add_f32_e32 v101, v99, v102
	v_sub_f32_e32 v99, v101, v99
	v_sub_f32_e32 v99, v102, v99
	v_add_f32_e32 v102, v103, v112
	v_sub_f32_e32 v103, v102, v103
	v_sub_f32_e32 v103, v112, v103
	v_add_f32_e32 v112, v100, v102
	v_add_f32_e32 v98, v98, v103
	v_sub_f32_e32 v100, v112, v100
	v_sub_f32_e32 v100, v102, v100
	v_add_f32_e32 v98, v98, v100
	;; [unrolled: 4-line block ×3, first 2 shown]
	v_sub_f32_e32 v103, v102, v101
	v_sub_f32_e32 v112, v102, v103
	;; [unrolled: 1-line block ×4, first 2 shown]
	v_add_f32_e32 v100, v100, v101
	v_add_f32_e32 v101, v99, v98
	v_sub_f32_e32 v103, v101, v99
	v_sub_f32_e32 v112, v101, v103
	;; [unrolled: 1-line block ×4, first 2 shown]
	v_add_f32_e32 v98, v98, v99
	v_add_f32_e32 v99, v101, v100
	;; [unrolled: 1-line block ×3, first 2 shown]
	v_sub_f32_e32 v101, v100, v102
	v_sub_f32_e32 v99, v99, v101
	v_add_f32_e32 v98, v98, v99
	v_add_f32_e32 v99, v100, v98
	v_sub_f32_e32 v100, v99, v100
	v_sub_f32_e32 v98, v98, v100
	v_mul_f32_e32 v100, v97, v99
	v_fma_f32 v99, v97, v99, -v100
	v_cmp_class_f32_e64 vcc_lo, v100, 0x204
	v_fmac_f32_e32 v99, v97, v98
	v_add_f32_e32 v98, v100, v99
	v_sub_f32_e32 v101, v98, v100
	v_cndmask_b32_e32 v98, v98, v100, vcc_lo
	v_sub_f32_e32 v99, v99, v101
	v_cmp_neq_f32_e64 vcc_lo, 0x7f800000, |v98|
	v_cndmask_b32_e32 v99, 0, v99, vcc_lo
	v_cmp_eq_f32_e32 vcc_lo, 0x42b17218, v98
	v_cndmask_b32_e64 v100, 0, 0x37000000, vcc_lo
	v_sub_f32_e32 v98, v98, v100
	v_add_f32_e32 v99, v100, v99
	v_mul_f32_e32 v100, 0x3fb8aa3b, v98
	v_cmp_ngt_f32_e32 vcc_lo, 0xc2ce8ed0, v98
	v_fma_f32 v101, 0x3fb8aa3b, v98, -v100
	v_rndne_f32_e32 v102, v100
	v_fmac_f32_e32 v101, 0x32a5705f, v98
	v_sub_f32_e32 v100, v100, v102
	v_add_f32_e32 v100, v100, v101
	v_cvt_i32_f32_e32 v101, v102
	v_exp_f32_e32 v100, v100
	v_ldexp_f32 v100, v100, v101
	v_cndmask_b32_e32 v100, 0, v100, vcc_lo
	v_cmp_nlt_f32_e32 vcc_lo, 0x42b17218, v98
	v_cndmask_b32_e32 v98, 0x7f800000, v100, vcc_lo
	v_fma_f32 v99, v98, v99, v98
	v_cmp_class_f32_e64 vcc_lo, v98, 0x204
	v_cndmask_b32_e32 v98, v99, v98, vcc_lo
	v_trunc_f32_e32 v99, v97
	v_cmp_eq_f32_e32 vcc_lo, v99, v97
	v_mul_f32_e32 v99, 0.5, v97
	v_trunc_f32_e32 v100, v99
	v_cmp_neq_f32_e64 s44, v100, v99
	s_and_b32 s44, vcc_lo, s44
	v_cndmask_b32_e64 v99, 1.0, v96, s44
	v_bfi_b32 v98, 0x7fffffff, v98, v99
	v_cndmask_b32_e32 v99, 0x7fc00000, v98, vcc_lo
	v_cmp_eq_f32_e32 vcc_lo, 0, v96
	v_cndmask_b32_e64 v98, v98, v99, s45
	s_xor_b32 s46, s46, vcc_lo
	v_cndmask_b32_e64 v99, 0, v96, s44
	v_cndmask_b32_e64 v97, 0x7f800000, 0, s46
	v_cmp_class_f32_e64 s45, v96, 0x204
	s_add_i32 s44, s74, 1
	v_bfi_b32 v97, 0x7fffffff, v97, v99
	s_or_b32 s45, vcc_lo, s45
	v_cmp_o_f32_e32 vcc_lo, v96, v96
	v_cndmask_b32_e64 v97, v98, v97, s45
	v_cndmask_b32_e32 v96, 0x7fc00000, v97, vcc_lo
	v_cmp_eq_u32_e32 vcc_lo, s74, v4
	s_mov_b32 s74, s44
	v_mul_f32_e32 v0, v96, v0
	s_or_b32 s56, vcc_lo, s56
	v_fmac_f32_e32 v81, v87, v0
	s_andn2_b32 exec_lo, exec_lo, s56
	s_cbranch_execz .LBB0_270
.LBB0_244:                              ;   Parent Loop BB0_225 Depth=1
                                        ; =>  This Loop Header: Depth=2
                                        ;       Child Loop BB0_247 Depth 3
                                        ;         Child Loop BB0_249 Depth 4
                                        ;         Child Loop BB0_253 Depth 4
	;; [unrolled: 1-line block ×3, first 2 shown]
                                        ;       Child Loop BB0_260 Depth 3
                                        ;       Child Loop BB0_265 Depth 3
	;; [unrolled: 1-line block ×3, first 2 shown]
	v_mov_b32_e32 v87, 0
	s_and_saveexec_b32 s75, s5
	s_cbranch_execz .LBB0_258
; %bb.245:                              ;   in Loop: Header=BB0_244 Depth=2
	v_lshl_add_u32 v0, s74, 2, v28
	v_mov_b32_e32 v87, 0
	v_mov_b32_e32 v96, v13
	s_mov_b32 s76, 0
	s_mov_b32 s77, 0
	s_branch .LBB0_247
.LBB0_246:                              ;   in Loop: Header=BB0_247 Depth=3
	s_or_b32 exec_lo, exec_lo, s45
	v_mul_lo_u32 v99, v99, s44
	v_sub_nc_u32_e32 v101, 0, v98
	v_cvt_f32_i32_e32 v97, v97
	v_add_nc_u32_e32 v96, -1, v96
	v_xor_b32_e32 v100, v98, v99
	v_max_i32_e32 v98, v98, v101
	v_sub_nc_u32_e32 v101, 0, v99
	v_ashrrev_i32_e32 v100, 31, v100
	v_max_i32_e32 v99, v99, v101
	v_cvt_f32_u32_e32 v101, v99
	v_sub_nc_u32_e32 v102, 0, v99
	v_rcp_iflag_f32_e32 v101, v101
	v_mul_f32_e32 v101, 0x4f7ffffe, v101
	v_cvt_u32_f32_e32 v101, v101
	v_mul_lo_u32 v102, v102, v101
	v_mul_hi_u32 v102, v101, v102
	v_add_nc_u32_e32 v101, v101, v102
	v_mul_hi_u32 v101, v98, v101
	v_mul_lo_u32 v102, v101, v99
	v_sub_nc_u32_e32 v98, v98, v102
	v_add_nc_u32_e32 v102, 1, v101
	v_cmp_ge_u32_e32 vcc_lo, v98, v99
	v_cndmask_b32_e32 v101, v101, v102, vcc_lo
	v_sub_nc_u32_e32 v102, v98, v99
	v_cndmask_b32_e32 v98, v98, v102, vcc_lo
	v_cmp_ge_u32_e32 vcc_lo, v98, v99
	v_add_nc_u32_e32 v98, 1, v101
	v_cndmask_b32_e32 v98, v101, v98, vcc_lo
	v_xor_b32_e32 v98, v98, v100
	v_sub_nc_u32_e32 v98, v98, v100
	v_cndmask_b32_e64 v100, v97, 1.0, s11
	v_cvt_f32_i32_e32 v99, v98
	v_cmp_neq_f32_e32 vcc_lo, 0, v100
	v_cmp_gt_f32_e64 s46, 0, v100
	v_cndmask_b32_e32 v101, 1.0, v34, vcc_lo
	v_frexp_mant_f32_e64 v97, |v101|
	v_cmp_gt_f32_e64 s45, 0, v101
	v_cmp_gt_f32_e32 vcc_lo, 0x3f2aaaab, v97
	v_cndmask_b32_e64 v98, 1.0, 2.0, vcc_lo
	v_mul_f32_e32 v97, v97, v98
	v_add_f32_e32 v102, 1.0, v97
	v_add_f32_e32 v98, -1.0, v97
	v_add_f32_e32 v103, -1.0, v102
	v_sub_f32_e32 v97, v97, v103
	v_rcp_f32_e32 v103, v102
	v_mul_f32_e32 v112, v98, v103
	v_mul_f32_e32 v113, v102, v112
	v_fma_f32 v102, v112, v102, -v113
	v_fmac_f32_e32 v102, v112, v97
	v_add_f32_e32 v97, v113, v102
	v_sub_f32_e32 v114, v98, v97
	v_sub_f32_e32 v113, v97, v113
	v_sub_f32_e32 v98, v98, v114
	v_sub_f32_e32 v97, v98, v97
	v_sub_f32_e32 v98, v113, v102
	v_add_f32_e32 v97, v98, v97
	v_add_f32_e32 v97, v114, v97
	v_mul_f32_e32 v97, v103, v97
	v_add_f32_e32 v102, v112, v97
	v_sub_f32_e32 v98, v102, v112
	v_sub_f32_e32 v103, v97, v98
	v_mul_f32_e32 v97, v102, v102
	v_add_f32_e32 v112, v103, v103
	v_fma_f32 v98, v102, v102, -v97
	v_fmac_f32_e32 v98, v102, v112
	v_add_f32_e32 v112, v97, v98
	v_sub_f32_e32 v97, v112, v97
	v_fmaak_f32 v113, s63, v112, 0x3e91f4c4
	v_sub_f32_e32 v97, v98, v97
	v_mul_f32_e32 v98, v102, v112
	v_fmaak_f32 v113, v112, v113, 0x3ecccdef
	v_fma_f32 v114, v112, v102, -v98
	v_fmac_f32_e32 v114, v112, v103
	v_fmac_f32_e32 v114, v97, v102
	v_ldexp_f32 v102, v102, 1
	v_add_f32_e32 v115, v98, v114
	v_sub_f32_e32 v98, v115, v98
	v_sub_f32_e32 v98, v114, v98
	v_mul_f32_e32 v114, v112, v113
	v_fma_f32 v112, v112, v113, -v114
	v_fmac_f32_e32 v112, v97, v113
	v_add_f32_e32 v97, v114, v112
	v_add_f32_e32 v113, 0x3f2aaaaa, v97
	v_sub_f32_e32 v114, v97, v114
	v_sub_f32_e32 v112, v112, v114
	v_add_f32_e32 v114, 0xbf2aaaaa, v113
	v_add_f32_e32 v112, 0x31739010, v112
	v_sub_f32_e32 v97, v97, v114
	v_add_f32_e32 v97, v112, v97
	v_add_f32_e32 v112, v113, v97
	v_sub_f32_e32 v113, v113, v112
	v_add_f32_e32 v97, v97, v113
	v_mul_f32_e32 v113, v115, v112
	v_fma_f32 v114, v115, v112, -v113
	v_fmac_f32_e32 v114, v115, v97
	v_fmac_f32_e32 v114, v98, v112
	v_cvt_f64_f32_e64 v[97:98], |v101|
	v_frexp_exp_i32_f64_e32 v97, v[97:98]
	v_subrev_co_ci_u32_e64 v97, null, 0, v97, vcc_lo
	v_cvt_f32_i32_e32 v97, v97
	v_mul_f32_e32 v98, 0x3f317218, v97
	v_fma_f32 v112, 0x3f317218, v97, -v98
	v_fmac_f32_e32 v112, 0xb102e308, v97
	v_ldexp_f32 v97, v103, 1
	v_add_f32_e32 v103, v98, v112
	v_sub_f32_e32 v98, v103, v98
	v_sub_f32_e32 v98, v112, v98
	v_add_f32_e32 v112, v113, v114
	v_sub_f32_e32 v113, v112, v113
	v_sub_f32_e32 v113, v114, v113
	v_add_f32_e32 v114, v102, v112
	v_add_f32_e32 v97, v97, v113
	v_sub_f32_e32 v102, v114, v102
	v_sub_f32_e32 v102, v112, v102
	v_add_f32_e32 v97, v97, v102
	v_add_f32_e32 v102, v114, v97
	v_sub_f32_e32 v112, v102, v114
	v_sub_f32_e32 v97, v97, v112
	v_add_f32_e32 v112, v103, v102
	v_sub_f32_e32 v113, v112, v103
	v_sub_f32_e32 v114, v112, v113
	v_sub_f32_e32 v102, v102, v113
	v_sub_f32_e32 v103, v103, v114
	v_add_f32_e32 v102, v102, v103
	v_add_f32_e32 v103, v98, v97
	v_sub_f32_e32 v113, v103, v98
	v_sub_f32_e32 v114, v103, v113
	;; [unrolled: 1-line block ×4, first 2 shown]
	v_add_f32_e32 v97, v97, v98
	v_add_f32_e32 v98, v103, v102
	;; [unrolled: 1-line block ×3, first 2 shown]
	v_sub_f32_e32 v103, v102, v112
	v_sub_f32_e32 v98, v98, v103
	v_add_f32_e32 v97, v97, v98
	v_add_f32_e32 v98, v102, v97
	v_sub_f32_e32 v102, v98, v102
	v_sub_f32_e32 v97, v97, v102
	v_mul_f32_e32 v102, v100, v98
	v_fma_f32 v98, v100, v98, -v102
	v_cmp_class_f32_e64 vcc_lo, v102, 0x204
	v_fmac_f32_e32 v98, v100, v97
	v_add_f32_e32 v97, v102, v98
	v_sub_f32_e32 v103, v97, v102
	v_cndmask_b32_e32 v97, v97, v102, vcc_lo
	v_sub_f32_e32 v98, v98, v103
	v_cmp_neq_f32_e64 vcc_lo, 0x7f800000, |v97|
	v_cndmask_b32_e32 v98, 0, v98, vcc_lo
	v_cmp_eq_f32_e32 vcc_lo, 0x42b17218, v97
	v_cndmask_b32_e64 v102, 0, 0x37000000, vcc_lo
	v_sub_f32_e32 v97, v97, v102
	v_add_f32_e32 v98, v102, v98
	v_mul_f32_e32 v102, 0x3fb8aa3b, v97
	v_cmp_ngt_f32_e32 vcc_lo, 0xc2ce8ed0, v97
	v_fma_f32 v103, 0x3fb8aa3b, v97, -v102
	v_rndne_f32_e32 v112, v102
	v_fmac_f32_e32 v103, 0x32a5705f, v97
	v_sub_f32_e32 v102, v102, v112
	v_add_f32_e32 v102, v102, v103
	v_cvt_i32_f32_e32 v103, v112
	v_exp_f32_e32 v102, v102
	v_ldexp_f32 v102, v102, v103
	v_cndmask_b32_e32 v102, 0, v102, vcc_lo
	v_cmp_nlt_f32_e32 vcc_lo, 0x42b17218, v97
	v_cndmask_b32_e32 v97, 0x7f800000, v102, vcc_lo
	v_fma_f32 v98, v97, v98, v97
	v_cmp_class_f32_e64 vcc_lo, v97, 0x204
	v_cndmask_b32_e32 v97, v98, v97, vcc_lo
	v_trunc_f32_e32 v98, v100
	v_cmp_eq_f32_e32 vcc_lo, v98, v100
	v_mul_f32_e32 v98, 0.5, v100
	v_trunc_f32_e32 v102, v98
	v_cmp_neq_f32_e64 s44, v102, v98
	s_and_b32 s44, vcc_lo, s44
	v_cndmask_b32_e64 v98, 1.0, v101, s44
	v_cndmask_b32_e64 v100, 0, v101, s44
	s_add_i32 s44, s77, 1
	v_bfi_b32 v97, 0x7fffffff, v97, v98
	v_cndmask_b32_e32 v98, 0x7fc00000, v97, vcc_lo
	v_cmp_eq_f32_e32 vcc_lo, 0, v101
	v_cndmask_b32_e64 v97, v97, v98, s45
	s_xor_b32 s46, s46, vcc_lo
	v_cmp_class_f32_e64 s45, v101, 0x204
	v_cndmask_b32_e64 v98, 0x7f800000, 0, s46
	s_or_b32 s45, vcc_lo, s45
	v_bfi_b32 v98, 0x7fffffff, v98, v100
	v_cmp_o_f32_e32 vcc_lo, v101, v101
	v_cndmask_b32_e64 v97, v97, v98, s45
	v_cndmask_b32_e32 v97, 0x7fc00000, v97, vcc_lo
	v_cmp_eq_u32_e32 vcc_lo, s77, v1
	v_mul_f32_e32 v99, v97, v99
	v_mad_u64_u32 v[97:98], null, s77, 28, v[0:1]
	s_or_b32 s76, vcc_lo, s76
	s_mov_b32 s77, s44
	buffer_load_dword v97, v97, s[0:3], 0 offen
	s_waitcnt vmcnt(0)
	v_fmac_f32_e32 v87, v97, v99
	s_andn2_b32 exec_lo, exec_lo, s76
	s_cbranch_execz .LBB0_262
.LBB0_247:                              ;   Parent Loop BB0_225 Depth=1
                                        ;     Parent Loop BB0_244 Depth=2
                                        ; =>    This Loop Header: Depth=3
                                        ;         Child Loop BB0_249 Depth 4
                                        ;         Child Loop BB0_253 Depth 4
	;; [unrolled: 1-line block ×3, first 2 shown]
	v_mov_b32_e32 v98, 1
	s_and_saveexec_b32 s44, s6
	s_cbranch_execz .LBB0_251
; %bb.248:                              ;   in Loop: Header=BB0_247 Depth=3
	s_mov_b32 s46, 1
	s_mov_b32 s45, 0
	;; [unrolled: 1-line block ×3, first 2 shown]
.LBB0_249:                              ;   Parent Loop BB0_225 Depth=1
                                        ;     Parent Loop BB0_244 Depth=2
                                        ;       Parent Loop BB0_247 Depth=3
                                        ; =>      This Inner Loop Header: Depth=4
	s_add_i32 s46, s46, 1
	v_cmp_eq_u32_e32 vcc_lo, s46, v1
	s_mul_i32 s78, s78, s46
	v_mov_b32_e32 v98, s78
	s_or_b32 s45, vcc_lo, s45
	s_andn2_b32 exec_lo, exec_lo, s45
	s_cbranch_execnz .LBB0_249
; %bb.250:                              ;   in Loop: Header=BB0_247 Depth=3
	s_or_b32 exec_lo, exec_lo, s45
.LBB0_251:                              ;   in Loop: Header=BB0_247 Depth=3
	s_or_b32 exec_lo, exec_lo, s44
	s_cmp_lt_u32 s77, 2
	s_mov_b32 s44, 1
	s_cbranch_scc1 .LBB0_254
; %bb.252:                              ;   in Loop: Header=BB0_247 Depth=3
	s_mov_b32 s45, 1
.LBB0_253:                              ;   Parent Loop BB0_225 Depth=1
                                        ;     Parent Loop BB0_244 Depth=2
                                        ;       Parent Loop BB0_247 Depth=3
                                        ; =>      This Inner Loop Header: Depth=4
	s_add_i32 s45, s45, 1
	s_cmp_lg_u32 s77, s45
	s_mul_i32 s44, s44, s45
	s_cbranch_scc1 .LBB0_253
.LBB0_254:                              ;   in Loop: Header=BB0_247 Depth=3
	v_subrev_nc_u32_e32 v97, s77, v1
	v_mov_b32_e32 v99, 1
	s_mov_b32 s45, exec_lo
	v_cmpx_lt_i32_e32 1, v97
	s_cbranch_execz .LBB0_246
; %bb.255:                              ;   in Loop: Header=BB0_247 Depth=3
	s_mov_b32 s78, 1
	s_mov_b32 s46, 0
	;; [unrolled: 1-line block ×3, first 2 shown]
.LBB0_256:                              ;   Parent Loop BB0_225 Depth=1
                                        ;     Parent Loop BB0_244 Depth=2
                                        ;       Parent Loop BB0_247 Depth=3
                                        ; =>      This Inner Loop Header: Depth=4
	s_add_i32 s88, s79, 2
	s_add_i32 s79, s79, 1
	s_mul_i32 s78, s78, s88
	v_cmp_eq_u32_e32 vcc_lo, s79, v96
	v_mov_b32_e32 v99, s78
	s_or_b32 s46, vcc_lo, s46
	s_andn2_b32 exec_lo, exec_lo, s46
	s_cbranch_execnz .LBB0_256
; %bb.257:                              ;   in Loop: Header=BB0_247 Depth=3
	s_or_b32 exec_lo, exec_lo, s46
	s_branch .LBB0_246
.LBB0_258:                              ;   in Loop: Header=BB0_244 Depth=2
	s_or_b32 exec_lo, exec_lo, s75
	v_mov_b32_e32 v0, 1
	s_and_saveexec_b32 s44, s12
	s_cbranch_execz .LBB0_263
.LBB0_259:                              ;   in Loop: Header=BB0_244 Depth=2
	s_mov_b32 s46, 1
	s_mov_b32 s45, 0
	;; [unrolled: 1-line block ×3, first 2 shown]
.LBB0_260:                              ;   Parent Loop BB0_225 Depth=1
                                        ;     Parent Loop BB0_244 Depth=2
                                        ; =>    This Inner Loop Header: Depth=3
	s_add_i32 s46, s46, 1
	v_cmp_eq_u32_e32 vcc_lo, s46, v4
	s_mul_i32 s75, s75, s46
	v_mov_b32_e32 v0, s75
	s_or_b32 s45, vcc_lo, s45
	s_andn2_b32 exec_lo, exec_lo, s45
	s_cbranch_execnz .LBB0_260
; %bb.261:                              ;   in Loop: Header=BB0_244 Depth=2
	s_or_b32 exec_lo, exec_lo, s45
	s_or_b32 exec_lo, exec_lo, s44
	s_cmp_lt_u32 s74, 2
	s_mov_b32 s44, 1
	s_cbranch_scc1 .LBB0_266
	s_branch .LBB0_264
.LBB0_262:                              ;   in Loop: Header=BB0_244 Depth=2
	s_or_b32 exec_lo, exec_lo, s76
	s_or_b32 exec_lo, exec_lo, s75
	v_mov_b32_e32 v0, 1
	s_and_saveexec_b32 s44, s12
	s_cbranch_execnz .LBB0_259
.LBB0_263:                              ;   in Loop: Header=BB0_244 Depth=2
	s_or_b32 exec_lo, exec_lo, s44
	s_cmp_lt_u32 s74, 2
	s_mov_b32 s44, 1
	s_cbranch_scc1 .LBB0_266
.LBB0_264:                              ;   in Loop: Header=BB0_244 Depth=2
	s_mov_b32 s45, 1
.LBB0_265:                              ;   Parent Loop BB0_225 Depth=1
                                        ;     Parent Loop BB0_244 Depth=2
                                        ; =>    This Inner Loop Header: Depth=3
	s_add_i32 s45, s45, 1
	s_cmp_lg_u32 s74, s45
	s_mul_i32 s44, s44, s45
	s_cbranch_scc1 .LBB0_265
.LBB0_266:                              ;   in Loop: Header=BB0_244 Depth=2
	v_subrev_nc_u32_e32 v96, s74, v4
	v_mov_b32_e32 v97, 1
	s_mov_b32 s45, exec_lo
	v_cmpx_lt_i32_e32 1, v96
	s_cbranch_execz .LBB0_243
; %bb.267:                              ;   in Loop: Header=BB0_244 Depth=2
	s_mov_b32 s75, 1
	s_mov_b32 s46, 0
	;; [unrolled: 1-line block ×3, first 2 shown]
.LBB0_268:                              ;   Parent Loop BB0_225 Depth=1
                                        ;     Parent Loop BB0_244 Depth=2
                                        ; =>    This Inner Loop Header: Depth=3
	s_add_i32 s77, s76, 2
	s_add_i32 s76, s76, 1
	s_mul_i32 s75, s75, s77
	v_cmp_eq_u32_e32 vcc_lo, s76, v86
	v_mov_b32_e32 v97, s75
	s_or_b32 s46, vcc_lo, s46
	s_andn2_b32 exec_lo, exec_lo, s46
	s_cbranch_execnz .LBB0_268
; %bb.269:                              ;   in Loop: Header=BB0_244 Depth=2
	s_or_b32 exec_lo, exec_lo, s46
	s_branch .LBB0_243
.LBB0_270:                              ;   in Loop: Header=BB0_225 Depth=1
	s_or_b32 exec_lo, exec_lo, s56
.LBB0_271:                              ;   in Loop: Header=BB0_225 Depth=1
	s_or_b32 exec_lo, exec_lo, s47
	v_mul_f32_e32 v0, v24, v85
	v_mul_f32_e32 v96, v65, v82
	buffer_store_dword v48, off, s[0:3], s32 offset:64
	v_cvt_f64_f32_e32 v[86:87], v0
	v_cvt_f64_f32_e32 v[96:97], v96
	v_fma_f64 v[86:87], v[96:97], 2.0, v[86:87]
	v_cvt_f32_f64_e32 v86, v[86:87]
	s_and_saveexec_b32 s44, s14
	s_cbranch_execz .LBB0_273
; %bb.272:                              ;   in Loop: Header=BB0_225 Depth=1
	v_mul_f32_e32 v0, v48, v86
	buffer_store_dword v0, off, s[0:3], s32 offset:92
.LBB0_273:                              ;   in Loop: Header=BB0_225 Depth=1
	s_or_b32 exec_lo, exec_lo, s44
	v_mul_f32_e32 v0, v50, v85
	v_mul_f32_e32 v87, v66, v82
	v_cvt_f64_f32_e32 v[96:97], v0
	v_cvt_f64_f32_e32 v[98:99], v87
	v_fma_f64 v[96:97], v[98:99], 2.0, v[96:97]
	v_cvt_f32_f64_e32 v0, v[96:97]
	s_and_saveexec_b32 s44, s15
	s_cbranch_execz .LBB0_275
; %bb.274:                              ;   in Loop: Header=BB0_225 Depth=1
	v_mul_f32_e32 v87, v48, v0
	buffer_store_dword v87, off, s[0:3], s32 offset:68
.LBB0_275:                              ;   in Loop: Header=BB0_225 Depth=1
	s_or_b32 exec_lo, exec_lo, s44
	s_and_saveexec_b32 s44, s16
	s_cbranch_execz .LBB0_278
; %bb.276:                              ;   in Loop: Header=BB0_225 Depth=1
	buffer_load_dword v87, off, s[0:3], s32 offset:92
	s_lshr_b32 s45, s32, 5
	s_mov_b32 s46, 1
	s_add_i32 s45, s45, 64
	s_mov_b32 s47, 0
.LBB0_277:                              ;   Parent Loop BB0_225 Depth=1
                                        ; =>  This Inner Loop Header: Depth=2
	v_mov_b32_e32 v96, s45
	v_cvt_f32_i32_e32 v98, s46
	s_add_i32 s46, s46, 1
	s_add_i32 s45, s45, 28
	v_cmp_eq_u32_e32 vcc_lo, s46, v55
	buffer_load_dword v97, v96, s[0:3], 0 offen
	v_mul_f32_e32 v98, v84, v98
	s_or_b32 s47, vcc_lo, s47
	s_waitcnt vmcnt(0)
	v_mul_f32_e32 v97, v97, v98
	v_fmac_f32_e32 v97, v87, v86
	v_mov_b32_e32 v87, v97
	buffer_store_dword v97, v96, s[0:3], 0 offen offset:56
	s_andn2_b32 exec_lo, exec_lo, s47
	s_cbranch_execnz .LBB0_277
.LBB0_278:                              ;   in Loop: Header=BB0_225 Depth=1
	s_or_b32 exec_lo, exec_lo, s44
	s_and_saveexec_b32 s44, s17
	s_cbranch_execz .LBB0_281
; %bb.279:                              ;   in Loop: Header=BB0_225 Depth=1
	buffer_load_dword v86, off, s[0:3], s32 offset:68
	s_lshr_b32 s45, s32, 5
	s_mov_b32 s46, 1
	s_add_i32 s45, s45, 64
	s_mov_b32 s47, 0
.LBB0_280:                              ;   Parent Loop BB0_225 Depth=1
                                        ; =>  This Inner Loop Header: Depth=2
	v_mov_b32_e32 v87, s45
	v_cvt_f32_i32_e32 v97, s46
	s_add_i32 s46, s46, 1
	s_add_i32 s45, s45, 4
	v_cmp_eq_u32_e32 vcc_lo, s46, v26
	buffer_load_dword v96, v87, s[0:3], 0 offen
	v_mul_f32_e32 v97, v83, v97
	s_or_b32 s47, vcc_lo, s47
	s_waitcnt vmcnt(0)
	v_mul_f32_e32 v96, v96, v97
	v_fmac_f32_e32 v96, v86, v0
	v_mov_b32_e32 v86, v96
	buffer_store_dword v96, v87, s[0:3], 0 offen offset:8
	s_andn2_b32 exec_lo, exec_lo, s47
	s_cbranch_execnz .LBB0_280
.LBB0_281:                              ;   in Loop: Header=BB0_225 Depth=1
	s_or_b32 exec_lo, exec_lo, s44
	s_and_saveexec_b32 s44, s61
	s_cbranch_execz .LBB0_287
; %bb.282:                              ;   in Loop: Header=BB0_225 Depth=1
	s_mov_b32 s47, 1
	s_mov_b32 s45, 0
	;; [unrolled: 1-line block ×3, first 2 shown]
	s_branch .LBB0_284
.LBB0_283:                              ;   in Loop: Header=BB0_284 Depth=2
	s_or_b32 exec_lo, exec_lo, s56
	v_cmp_eq_u32_e32 vcc_lo, s47, v55
	s_add_i32 s47, s47, 1
	s_add_i32 s46, s46, 28
	s_or_b32 s45, vcc_lo, s45
	s_andn2_b32 exec_lo, exec_lo, s45
	s_cbranch_execz .LBB0_287
.LBB0_284:                              ;   Parent Loop BB0_225 Depth=1
                                        ; =>  This Loop Header: Depth=2
                                        ;       Child Loop BB0_286 Depth 3
	s_mul_i32 s56, s47, 28
	s_lshr_b32 s74, s32, 5
	s_add_i32 s56, s74, s56
	s_add_i32 s56, s56, 64
	v_mov_b32_e32 v96, s56
	s_sub_i32 s56, s56, 28
	v_mov_b32_e32 v86, s56
	s_clause 0x1
	buffer_load_dword v87, v96, s[0:3], 0 offen
	buffer_load_dword v97, v86, s[0:3], 0 offen
	v_cvt_f32_u32_e32 v86, s47
	v_mul_f32_e32 v86, v82, v86
	s_waitcnt vmcnt(1)
	v_mul_f32_e32 v87, v87, v0
	s_waitcnt vmcnt(0)
	v_fmac_f32_e32 v87, v97, v86
	buffer_store_dword v87, v96, s[0:3], 0 offen offset:4
	s_and_saveexec_b32 s56, s17
	s_cbranch_execz .LBB0_283
; %bb.285:                              ;   in Loop: Header=BB0_284 Depth=2
	s_mov_b32 s74, 1
	s_mov_b32 s75, 0
	;; [unrolled: 1-line block ×3, first 2 shown]
	.p2align	6
.LBB0_286:                              ;   Parent Loop BB0_225 Depth=1
                                        ;     Parent Loop BB0_284 Depth=2
                                        ; =>    This Inner Loop Header: Depth=3
	v_mov_b32_e32 v96, s76
	v_cvt_f32_i32_e32 v99, s74
	s_add_i32 s74, s74, 1
	s_add_i32 s76, s76, 4
	v_cmp_eq_u32_e32 vcc_lo, s74, v26
	s_clause 0x1
	buffer_load_dword v97, v96, s[0:3], 0 offen offset:24
	buffer_load_dword v98, v96, s[0:3], 0 offen
	v_mul_f32_e32 v99, v83, v99
	s_or_b32 s75, vcc_lo, s75
	s_waitcnt vmcnt(1)
	v_mul_f32_e32 v97, v97, v99
	s_waitcnt vmcnt(0)
	v_fmac_f32_e32 v97, v86, v98
	v_fmac_f32_e32 v97, v87, v0
	v_mov_b32_e32 v87, v97
	buffer_store_dword v97, v96, s[0:3], 0 offen offset:32
	s_andn2_b32 exec_lo, exec_lo, s75
	s_cbranch_execnz .LBB0_286
	s_branch .LBB0_283
.LBB0_287:                              ;   in Loop: Header=BB0_225 Depth=1
	s_or_b32 exec_lo, exec_lo, s44
	v_mov_b32_e32 v86, 0
	s_and_saveexec_b32 s47, s18
	s_cbranch_execz .LBB0_317
; %bb.288:                              ;   in Loop: Header=BB0_225 Depth=1
	v_mov_b32_e32 v86, 0
	v_mov_b32_e32 v87, v70
	s_mov_b32 s56, 0
	s_mov_b32 s74, 0
	s_branch .LBB0_290
.LBB0_289:                              ;   in Loop: Header=BB0_290 Depth=2
	s_or_b32 exec_lo, exec_lo, s45
	v_mul_lo_u32 v98, v98, s44
	v_sub_nc_u32_e32 v100, 0, v0
	v_cvt_f32_i32_e32 v97, v97
	v_add_nc_u32_e32 v87, -1, v87
	v_xor_b32_e32 v99, v0, v98
	v_max_i32_e32 v0, v0, v100
	v_sub_nc_u32_e32 v100, 0, v98
	v_ashrrev_i32_e32 v99, 31, v99
	v_max_i32_e32 v98, v98, v100
	v_cvt_f32_u32_e32 v100, v98
	v_sub_nc_u32_e32 v101, 0, v98
	v_rcp_iflag_f32_e32 v100, v100
	v_mul_f32_e32 v100, 0x4f7ffffe, v100
	v_cvt_u32_f32_e32 v100, v100
	v_mul_lo_u32 v101, v101, v100
	v_mul_hi_u32 v101, v100, v101
	v_add_nc_u32_e32 v100, v100, v101
	v_mul_hi_u32 v100, v0, v100
	v_mul_lo_u32 v101, v100, v98
	v_sub_nc_u32_e32 v0, v0, v101
	v_add_nc_u32_e32 v101, 1, v100
	v_cmp_ge_u32_e32 vcc_lo, v0, v98
	v_cndmask_b32_e32 v100, v100, v101, vcc_lo
	v_sub_nc_u32_e32 v101, v0, v98
	v_cndmask_b32_e32 v0, v0, v101, vcc_lo
	v_cmp_ge_u32_e32 vcc_lo, v0, v98
	v_add_nc_u32_e32 v0, 1, v100
	v_cndmask_b32_e64 v98, v97, 1.0, s23
	v_cndmask_b32_e32 v0, v100, v0, vcc_lo
	v_cmp_neq_f32_e32 vcc_lo, 0, v98
	v_cmp_gt_f32_e64 s46, 0, v98
	v_xor_b32_e32 v0, v0, v99
	v_cndmask_b32_e32 v97, 1.0, v33, vcc_lo
	v_sub_nc_u32_e32 v0, v0, v99
	v_frexp_mant_f32_e64 v99, |v97|
	v_cmp_gt_f32_e64 s45, 0, v97
	v_cvt_f32_i32_e32 v0, v0
	v_cmp_gt_f32_e32 vcc_lo, 0x3f2aaaab, v99
	v_cndmask_b32_e64 v100, 1.0, 2.0, vcc_lo
	v_mul_f32_e32 v99, v99, v100
	v_add_f32_e32 v101, 1.0, v99
	v_add_f32_e32 v100, -1.0, v99
	v_add_f32_e32 v102, -1.0, v101
	v_sub_f32_e32 v99, v99, v102
	v_rcp_f32_e32 v102, v101
	v_mul_f32_e32 v103, v100, v102
	v_mul_f32_e32 v112, v101, v103
	v_fma_f32 v101, v103, v101, -v112
	v_fmac_f32_e32 v101, v103, v99
	v_add_f32_e32 v99, v112, v101
	v_sub_f32_e32 v113, v100, v99
	v_sub_f32_e32 v112, v99, v112
	;; [unrolled: 1-line block ×5, first 2 shown]
	v_add_f32_e32 v99, v100, v99
	v_add_f32_e32 v99, v113, v99
	v_mul_f32_e32 v99, v102, v99
	v_add_f32_e32 v101, v103, v99
	v_sub_f32_e32 v100, v101, v103
	v_sub_f32_e32 v102, v99, v100
	v_mul_f32_e32 v99, v101, v101
	v_add_f32_e32 v103, v102, v102
	v_fma_f32 v100, v101, v101, -v99
	v_fmac_f32_e32 v100, v101, v103
	v_add_f32_e32 v103, v99, v100
	v_sub_f32_e32 v99, v103, v99
	v_fmaak_f32 v112, s63, v103, 0x3e91f4c4
	v_sub_f32_e32 v99, v100, v99
	v_mul_f32_e32 v100, v101, v103
	v_fmaak_f32 v112, v103, v112, 0x3ecccdef
	v_fma_f32 v113, v103, v101, -v100
	v_fmac_f32_e32 v113, v103, v102
	v_fmac_f32_e32 v113, v99, v101
	v_ldexp_f32 v101, v101, 1
	v_add_f32_e32 v114, v100, v113
	v_sub_f32_e32 v100, v114, v100
	v_sub_f32_e32 v100, v113, v100
	v_mul_f32_e32 v113, v103, v112
	v_fma_f32 v103, v103, v112, -v113
	v_fmac_f32_e32 v103, v99, v112
	v_add_f32_e32 v99, v113, v103
	v_add_f32_e32 v112, 0x3f2aaaaa, v99
	v_sub_f32_e32 v113, v99, v113
	v_sub_f32_e32 v103, v103, v113
	v_add_f32_e32 v113, 0xbf2aaaaa, v112
	v_add_f32_e32 v103, 0x31739010, v103
	v_sub_f32_e32 v99, v99, v113
	v_add_f32_e32 v99, v103, v99
	v_add_f32_e32 v103, v112, v99
	v_sub_f32_e32 v112, v112, v103
	v_add_f32_e32 v99, v99, v112
	v_mul_f32_e32 v112, v114, v103
	v_fma_f32 v113, v114, v103, -v112
	v_fmac_f32_e32 v113, v114, v99
	v_fmac_f32_e32 v113, v100, v103
	v_cvt_f64_f32_e64 v[99:100], |v97|
	v_frexp_exp_i32_f64_e32 v99, v[99:100]
	v_subrev_co_ci_u32_e64 v99, null, 0, v99, vcc_lo
	v_cvt_f32_i32_e32 v99, v99
	v_mul_f32_e32 v100, 0x3f317218, v99
	v_fma_f32 v103, 0x3f317218, v99, -v100
	v_fmac_f32_e32 v103, 0xb102e308, v99
	v_ldexp_f32 v99, v102, 1
	v_add_f32_e32 v102, v100, v103
	v_sub_f32_e32 v100, v102, v100
	v_sub_f32_e32 v100, v103, v100
	v_add_f32_e32 v103, v112, v113
	v_sub_f32_e32 v112, v103, v112
	v_sub_f32_e32 v112, v113, v112
	v_add_f32_e32 v113, v101, v103
	v_add_f32_e32 v99, v99, v112
	v_sub_f32_e32 v101, v113, v101
	v_sub_f32_e32 v101, v103, v101
	v_add_f32_e32 v99, v99, v101
	;; [unrolled: 4-line block ×3, first 2 shown]
	v_sub_f32_e32 v112, v103, v102
	v_sub_f32_e32 v113, v103, v112
	;; [unrolled: 1-line block ×4, first 2 shown]
	v_add_f32_e32 v101, v101, v102
	v_add_f32_e32 v102, v100, v99
	v_sub_f32_e32 v112, v102, v100
	v_sub_f32_e32 v113, v102, v112
	;; [unrolled: 1-line block ×4, first 2 shown]
	v_add_f32_e32 v99, v99, v100
	v_add_f32_e32 v100, v102, v101
	;; [unrolled: 1-line block ×3, first 2 shown]
	v_sub_f32_e32 v102, v101, v103
	v_sub_f32_e32 v100, v100, v102
	v_add_f32_e32 v99, v99, v100
	v_add_f32_e32 v100, v101, v99
	v_sub_f32_e32 v101, v100, v101
	v_sub_f32_e32 v99, v99, v101
	v_mul_f32_e32 v101, v98, v100
	v_fma_f32 v100, v98, v100, -v101
	v_cmp_class_f32_e64 vcc_lo, v101, 0x204
	v_fmac_f32_e32 v100, v98, v99
	v_add_f32_e32 v99, v101, v100
	v_sub_f32_e32 v102, v99, v101
	v_cndmask_b32_e32 v99, v99, v101, vcc_lo
	v_sub_f32_e32 v100, v100, v102
	v_cmp_neq_f32_e64 vcc_lo, 0x7f800000, |v99|
	v_cndmask_b32_e32 v100, 0, v100, vcc_lo
	v_cmp_eq_f32_e32 vcc_lo, 0x42b17218, v99
	v_cndmask_b32_e64 v101, 0, 0x37000000, vcc_lo
	v_sub_f32_e32 v99, v99, v101
	v_add_f32_e32 v100, v101, v100
	v_mul_f32_e32 v101, 0x3fb8aa3b, v99
	v_cmp_ngt_f32_e32 vcc_lo, 0xc2ce8ed0, v99
	v_fma_f32 v102, 0x3fb8aa3b, v99, -v101
	v_rndne_f32_e32 v103, v101
	v_fmac_f32_e32 v102, 0x32a5705f, v99
	v_sub_f32_e32 v101, v101, v103
	v_add_f32_e32 v101, v101, v102
	v_cvt_i32_f32_e32 v102, v103
	v_exp_f32_e32 v101, v101
	v_ldexp_f32 v101, v101, v102
	v_cndmask_b32_e32 v101, 0, v101, vcc_lo
	v_cmp_nlt_f32_e32 vcc_lo, 0x42b17218, v99
	v_cndmask_b32_e32 v99, 0x7f800000, v101, vcc_lo
	v_fma_f32 v100, v99, v100, v99
	v_cmp_class_f32_e64 vcc_lo, v99, 0x204
	v_cndmask_b32_e32 v99, v100, v99, vcc_lo
	v_trunc_f32_e32 v100, v98
	v_cmp_eq_f32_e32 vcc_lo, v100, v98
	v_mul_f32_e32 v100, 0.5, v98
	v_trunc_f32_e32 v101, v100
	v_cmp_neq_f32_e64 s44, v101, v100
	s_and_b32 s44, vcc_lo, s44
	v_cndmask_b32_e64 v100, 1.0, v97, s44
	v_bfi_b32 v99, 0x7fffffff, v99, v100
	v_cndmask_b32_e32 v100, 0x7fc00000, v99, vcc_lo
	v_cmp_eq_f32_e32 vcc_lo, 0, v97
	v_cndmask_b32_e64 v99, v99, v100, s45
	s_xor_b32 s46, s46, vcc_lo
	v_cndmask_b32_e64 v100, 0, v97, s44
	v_cndmask_b32_e64 v98, 0x7f800000, 0, s46
	v_cmp_class_f32_e64 s45, v97, 0x204
	s_add_i32 s44, s74, 1
	v_bfi_b32 v98, 0x7fffffff, v98, v100
	s_or_b32 s45, vcc_lo, s45
	v_cmp_o_f32_e32 vcc_lo, v97, v97
	v_cndmask_b32_e64 v98, v99, v98, s45
	v_cndmask_b32_e32 v97, 0x7fc00000, v98, vcc_lo
	v_cmp_eq_u32_e32 vcc_lo, s74, v5
	s_mov_b32 s74, s44
	v_mul_f32_e32 v0, v97, v0
	s_or_b32 s56, vcc_lo, s56
	v_fmac_f32_e32 v86, v96, v0
	s_andn2_b32 exec_lo, exec_lo, s56
	s_cbranch_execz .LBB0_316
.LBB0_290:                              ;   Parent Loop BB0_225 Depth=1
                                        ; =>  This Loop Header: Depth=2
                                        ;       Child Loop BB0_293 Depth 3
                                        ;         Child Loop BB0_295 Depth 4
                                        ;         Child Loop BB0_299 Depth 4
	;; [unrolled: 1-line block ×3, first 2 shown]
                                        ;       Child Loop BB0_306 Depth 3
                                        ;       Child Loop BB0_311 Depth 3
	;; [unrolled: 1-line block ×3, first 2 shown]
	v_mov_b32_e32 v96, 0
	s_and_saveexec_b32 s75, s19
	s_cbranch_execz .LBB0_304
; %bb.291:                              ;   in Loop: Header=BB0_290 Depth=2
	v_lshl_add_u32 v0, s74, 2, v21
	v_mov_b32_e32 v96, 0
	v_mov_b32_e32 v97, v69
	s_mov_b32 s76, 0
	s_mov_b32 s77, 0
	s_branch .LBB0_293
.LBB0_292:                              ;   in Loop: Header=BB0_293 Depth=3
	s_or_b32 exec_lo, exec_lo, s45
	v_mul_lo_u32 v100, v100, s44
	v_sub_nc_u32_e32 v102, 0, v99
	v_cvt_f32_i32_e32 v98, v98
	v_add_nc_u32_e32 v97, -1, v97
	v_xor_b32_e32 v101, v99, v100
	v_max_i32_e32 v99, v99, v102
	v_sub_nc_u32_e32 v102, 0, v100
	v_ashrrev_i32_e32 v101, 31, v101
	v_max_i32_e32 v100, v100, v102
	v_cvt_f32_u32_e32 v102, v100
	v_sub_nc_u32_e32 v103, 0, v100
	v_rcp_iflag_f32_e32 v102, v102
	v_mul_f32_e32 v102, 0x4f7ffffe, v102
	v_cvt_u32_f32_e32 v102, v102
	v_mul_lo_u32 v103, v103, v102
	v_mul_hi_u32 v103, v102, v103
	v_add_nc_u32_e32 v102, v102, v103
	v_mul_hi_u32 v102, v99, v102
	v_mul_lo_u32 v103, v102, v100
	v_sub_nc_u32_e32 v99, v99, v103
	v_add_nc_u32_e32 v103, 1, v102
	v_cmp_ge_u32_e32 vcc_lo, v99, v100
	v_cndmask_b32_e32 v102, v102, v103, vcc_lo
	v_sub_nc_u32_e32 v103, v99, v100
	v_cndmask_b32_e32 v99, v99, v103, vcc_lo
	v_cmp_ge_u32_e32 vcc_lo, v99, v100
	v_add_nc_u32_e32 v99, 1, v102
	v_cndmask_b32_e32 v99, v102, v99, vcc_lo
	v_xor_b32_e32 v99, v99, v101
	v_sub_nc_u32_e32 v99, v99, v101
	v_cndmask_b32_e64 v101, v98, 1.0, s21
	v_cvt_f32_i32_e32 v100, v99
	v_cmp_neq_f32_e32 vcc_lo, 0, v101
	v_cmp_gt_f32_e64 s46, 0, v101
	v_cndmask_b32_e32 v102, 1.0, v31, vcc_lo
	v_frexp_mant_f32_e64 v98, |v102|
	v_cmp_gt_f32_e64 s45, 0, v102
	v_cmp_gt_f32_e32 vcc_lo, 0x3f2aaaab, v98
	v_cndmask_b32_e64 v99, 1.0, 2.0, vcc_lo
	v_mul_f32_e32 v98, v98, v99
	v_add_f32_e32 v103, 1.0, v98
	v_add_f32_e32 v99, -1.0, v98
	v_add_f32_e32 v112, -1.0, v103
	v_sub_f32_e32 v98, v98, v112
	v_rcp_f32_e32 v112, v103
	v_mul_f32_e32 v113, v99, v112
	v_mul_f32_e32 v114, v103, v113
	v_fma_f32 v103, v113, v103, -v114
	v_fmac_f32_e32 v103, v113, v98
	v_add_f32_e32 v98, v114, v103
	v_sub_f32_e32 v115, v99, v98
	v_sub_f32_e32 v114, v98, v114
	v_sub_f32_e32 v99, v99, v115
	v_sub_f32_e32 v98, v99, v98
	v_sub_f32_e32 v99, v114, v103
	v_add_f32_e32 v98, v99, v98
	v_add_f32_e32 v98, v115, v98
	v_mul_f32_e32 v98, v112, v98
	v_add_f32_e32 v103, v113, v98
	v_sub_f32_e32 v99, v103, v113
	v_sub_f32_e32 v112, v98, v99
	v_mul_f32_e32 v98, v103, v103
	v_add_f32_e32 v113, v112, v112
	v_fma_f32 v99, v103, v103, -v98
	v_fmac_f32_e32 v99, v103, v113
	v_add_f32_e32 v113, v98, v99
	v_sub_f32_e32 v98, v113, v98
	v_fmaak_f32 v114, s63, v113, 0x3e91f4c4
	v_sub_f32_e32 v98, v99, v98
	v_mul_f32_e32 v99, v103, v113
	v_fmaak_f32 v114, v113, v114, 0x3ecccdef
	v_fma_f32 v115, v113, v103, -v99
	v_fmac_f32_e32 v115, v113, v112
	v_fmac_f32_e32 v115, v98, v103
	v_ldexp_f32 v103, v103, 1
	v_add_f32_e32 v116, v99, v115
	v_sub_f32_e32 v99, v116, v99
	v_sub_f32_e32 v99, v115, v99
	v_mul_f32_e32 v115, v113, v114
	v_fma_f32 v113, v113, v114, -v115
	v_fmac_f32_e32 v113, v98, v114
	v_add_f32_e32 v98, v115, v113
	v_add_f32_e32 v114, 0x3f2aaaaa, v98
	v_sub_f32_e32 v115, v98, v115
	v_sub_f32_e32 v113, v113, v115
	v_add_f32_e32 v115, 0xbf2aaaaa, v114
	v_add_f32_e32 v113, 0x31739010, v113
	v_sub_f32_e32 v98, v98, v115
	v_add_f32_e32 v98, v113, v98
	v_add_f32_e32 v113, v114, v98
	v_sub_f32_e32 v114, v114, v113
	v_add_f32_e32 v98, v98, v114
	v_mul_f32_e32 v114, v116, v113
	v_fma_f32 v115, v116, v113, -v114
	v_fmac_f32_e32 v115, v116, v98
	v_fmac_f32_e32 v115, v99, v113
	v_cvt_f64_f32_e64 v[98:99], |v102|
	v_frexp_exp_i32_f64_e32 v98, v[98:99]
	v_subrev_co_ci_u32_e64 v98, null, 0, v98, vcc_lo
	v_cvt_f32_i32_e32 v98, v98
	v_mul_f32_e32 v99, 0x3f317218, v98
	v_fma_f32 v113, 0x3f317218, v98, -v99
	v_fmac_f32_e32 v113, 0xb102e308, v98
	v_ldexp_f32 v98, v112, 1
	v_add_f32_e32 v112, v99, v113
	v_sub_f32_e32 v99, v112, v99
	v_sub_f32_e32 v99, v113, v99
	v_add_f32_e32 v113, v114, v115
	v_sub_f32_e32 v114, v113, v114
	v_sub_f32_e32 v114, v115, v114
	v_add_f32_e32 v115, v103, v113
	v_add_f32_e32 v98, v98, v114
	v_sub_f32_e32 v103, v115, v103
	v_sub_f32_e32 v103, v113, v103
	v_add_f32_e32 v98, v98, v103
	;; [unrolled: 4-line block ×3, first 2 shown]
	v_sub_f32_e32 v114, v113, v112
	v_sub_f32_e32 v115, v113, v114
	;; [unrolled: 1-line block ×4, first 2 shown]
	v_add_f32_e32 v103, v103, v112
	v_add_f32_e32 v112, v99, v98
	v_sub_f32_e32 v114, v112, v99
	v_sub_f32_e32 v115, v112, v114
	;; [unrolled: 1-line block ×4, first 2 shown]
	v_add_f32_e32 v98, v98, v99
	v_add_f32_e32 v99, v112, v103
	;; [unrolled: 1-line block ×3, first 2 shown]
	v_sub_f32_e32 v112, v103, v113
	v_sub_f32_e32 v99, v99, v112
	v_add_f32_e32 v98, v98, v99
	v_add_f32_e32 v99, v103, v98
	v_sub_f32_e32 v103, v99, v103
	v_sub_f32_e32 v98, v98, v103
	v_mul_f32_e32 v103, v101, v99
	v_fma_f32 v99, v101, v99, -v103
	v_cmp_class_f32_e64 vcc_lo, v103, 0x204
	v_fmac_f32_e32 v99, v101, v98
	v_add_f32_e32 v98, v103, v99
	v_sub_f32_e32 v112, v98, v103
	v_cndmask_b32_e32 v98, v98, v103, vcc_lo
	v_sub_f32_e32 v99, v99, v112
	v_cmp_neq_f32_e64 vcc_lo, 0x7f800000, |v98|
	v_cndmask_b32_e32 v99, 0, v99, vcc_lo
	v_cmp_eq_f32_e32 vcc_lo, 0x42b17218, v98
	v_cndmask_b32_e64 v103, 0, 0x37000000, vcc_lo
	v_sub_f32_e32 v98, v98, v103
	v_add_f32_e32 v99, v103, v99
	v_mul_f32_e32 v103, 0x3fb8aa3b, v98
	v_cmp_ngt_f32_e32 vcc_lo, 0xc2ce8ed0, v98
	v_fma_f32 v112, 0x3fb8aa3b, v98, -v103
	v_rndne_f32_e32 v113, v103
	v_fmac_f32_e32 v112, 0x32a5705f, v98
	v_sub_f32_e32 v103, v103, v113
	v_add_f32_e32 v103, v103, v112
	v_cvt_i32_f32_e32 v112, v113
	v_exp_f32_e32 v103, v103
	v_ldexp_f32 v103, v103, v112
	v_cndmask_b32_e32 v103, 0, v103, vcc_lo
	v_cmp_nlt_f32_e32 vcc_lo, 0x42b17218, v98
	v_cndmask_b32_e32 v98, 0x7f800000, v103, vcc_lo
	v_fma_f32 v99, v98, v99, v98
	v_cmp_class_f32_e64 vcc_lo, v98, 0x204
	v_cndmask_b32_e32 v98, v99, v98, vcc_lo
	v_trunc_f32_e32 v99, v101
	v_cmp_eq_f32_e32 vcc_lo, v99, v101
	v_mul_f32_e32 v99, 0.5, v101
	v_trunc_f32_e32 v103, v99
	v_cmp_neq_f32_e64 s44, v103, v99
	s_and_b32 s44, vcc_lo, s44
	v_cndmask_b32_e64 v99, 1.0, v102, s44
	v_cndmask_b32_e64 v101, 0, v102, s44
	s_add_i32 s44, s77, 1
	v_bfi_b32 v98, 0x7fffffff, v98, v99
	v_cndmask_b32_e32 v99, 0x7fc00000, v98, vcc_lo
	v_cmp_eq_f32_e32 vcc_lo, 0, v102
	v_cndmask_b32_e64 v98, v98, v99, s45
	s_xor_b32 s46, s46, vcc_lo
	v_cmp_class_f32_e64 s45, v102, 0x204
	v_cndmask_b32_e64 v99, 0x7f800000, 0, s46
	s_or_b32 s45, vcc_lo, s45
	v_bfi_b32 v99, 0x7fffffff, v99, v101
	v_cmp_o_f32_e32 vcc_lo, v102, v102
	v_cndmask_b32_e64 v98, v98, v99, s45
	v_cndmask_b32_e32 v98, 0x7fc00000, v98, vcc_lo
	v_cmp_eq_u32_e32 vcc_lo, s77, v2
	v_mul_f32_e32 v100, v98, v100
	v_mad_u64_u32 v[98:99], null, s77, 28, v[0:1]
	s_or_b32 s76, vcc_lo, s76
	s_mov_b32 s77, s44
	buffer_load_dword v98, v98, s[0:3], 0 offen
	s_waitcnt vmcnt(0)
	v_fmac_f32_e32 v96, v98, v100
	s_andn2_b32 exec_lo, exec_lo, s76
	s_cbranch_execz .LBB0_308
.LBB0_293:                              ;   Parent Loop BB0_225 Depth=1
                                        ;     Parent Loop BB0_290 Depth=2
                                        ; =>    This Loop Header: Depth=3
                                        ;         Child Loop BB0_295 Depth 4
                                        ;         Child Loop BB0_299 Depth 4
	;; [unrolled: 1-line block ×3, first 2 shown]
	v_mov_b32_e32 v99, 1
	s_and_saveexec_b32 s44, s20
	s_cbranch_execz .LBB0_297
; %bb.294:                              ;   in Loop: Header=BB0_293 Depth=3
	s_mov_b32 s46, 1
	s_mov_b32 s45, 0
	;; [unrolled: 1-line block ×3, first 2 shown]
.LBB0_295:                              ;   Parent Loop BB0_225 Depth=1
                                        ;     Parent Loop BB0_290 Depth=2
                                        ;       Parent Loop BB0_293 Depth=3
                                        ; =>      This Inner Loop Header: Depth=4
	s_add_i32 s46, s46, 1
	v_cmp_eq_u32_e32 vcc_lo, s46, v2
	s_mul_i32 s78, s78, s46
	v_mov_b32_e32 v99, s78
	s_or_b32 s45, vcc_lo, s45
	s_andn2_b32 exec_lo, exec_lo, s45
	s_cbranch_execnz .LBB0_295
; %bb.296:                              ;   in Loop: Header=BB0_293 Depth=3
	s_or_b32 exec_lo, exec_lo, s45
.LBB0_297:                              ;   in Loop: Header=BB0_293 Depth=3
	s_or_b32 exec_lo, exec_lo, s44
	s_cmp_lt_u32 s77, 2
	s_mov_b32 s44, 1
	s_cbranch_scc1 .LBB0_300
; %bb.298:                              ;   in Loop: Header=BB0_293 Depth=3
	s_mov_b32 s45, 1
.LBB0_299:                              ;   Parent Loop BB0_225 Depth=1
                                        ;     Parent Loop BB0_290 Depth=2
                                        ;       Parent Loop BB0_293 Depth=3
                                        ; =>      This Inner Loop Header: Depth=4
	s_add_i32 s45, s45, 1
	s_cmp_lg_u32 s77, s45
	s_mul_i32 s44, s44, s45
	s_cbranch_scc1 .LBB0_299
.LBB0_300:                              ;   in Loop: Header=BB0_293 Depth=3
	v_subrev_nc_u32_e32 v98, s77, v2
	v_mov_b32_e32 v100, 1
	s_mov_b32 s45, exec_lo
	v_cmpx_lt_i32_e32 1, v98
	s_cbranch_execz .LBB0_292
; %bb.301:                              ;   in Loop: Header=BB0_293 Depth=3
	s_mov_b32 s78, 1
	s_mov_b32 s46, 0
	;; [unrolled: 1-line block ×3, first 2 shown]
.LBB0_302:                              ;   Parent Loop BB0_225 Depth=1
                                        ;     Parent Loop BB0_290 Depth=2
                                        ;       Parent Loop BB0_293 Depth=3
                                        ; =>      This Inner Loop Header: Depth=4
	s_add_i32 s88, s79, 2
	s_add_i32 s79, s79, 1
	s_mul_i32 s78, s78, s88
	v_cmp_eq_u32_e32 vcc_lo, s79, v97
	v_mov_b32_e32 v100, s78
	s_or_b32 s46, vcc_lo, s46
	s_andn2_b32 exec_lo, exec_lo, s46
	s_cbranch_execnz .LBB0_302
; %bb.303:                              ;   in Loop: Header=BB0_293 Depth=3
	s_or_b32 exec_lo, exec_lo, s46
	s_branch .LBB0_292
.LBB0_304:                              ;   in Loop: Header=BB0_290 Depth=2
	s_or_b32 exec_lo, exec_lo, s75
	v_mov_b32_e32 v0, 1
	s_and_saveexec_b32 s44, s22
	s_cbranch_execz .LBB0_309
.LBB0_305:                              ;   in Loop: Header=BB0_290 Depth=2
	s_mov_b32 s46, 1
	s_mov_b32 s45, 0
	;; [unrolled: 1-line block ×3, first 2 shown]
.LBB0_306:                              ;   Parent Loop BB0_225 Depth=1
                                        ;     Parent Loop BB0_290 Depth=2
                                        ; =>    This Inner Loop Header: Depth=3
	s_add_i32 s46, s46, 1
	v_cmp_eq_u32_e32 vcc_lo, s46, v5
	s_mul_i32 s75, s75, s46
	v_mov_b32_e32 v0, s75
	s_or_b32 s45, vcc_lo, s45
	s_andn2_b32 exec_lo, exec_lo, s45
	s_cbranch_execnz .LBB0_306
; %bb.307:                              ;   in Loop: Header=BB0_290 Depth=2
	s_or_b32 exec_lo, exec_lo, s45
	s_or_b32 exec_lo, exec_lo, s44
	s_cmp_lt_u32 s74, 2
	s_mov_b32 s44, 1
	s_cbranch_scc1 .LBB0_312
	s_branch .LBB0_310
.LBB0_308:                              ;   in Loop: Header=BB0_290 Depth=2
	s_or_b32 exec_lo, exec_lo, s76
	s_or_b32 exec_lo, exec_lo, s75
	v_mov_b32_e32 v0, 1
	s_and_saveexec_b32 s44, s22
	s_cbranch_execnz .LBB0_305
.LBB0_309:                              ;   in Loop: Header=BB0_290 Depth=2
	s_or_b32 exec_lo, exec_lo, s44
	s_cmp_lt_u32 s74, 2
	s_mov_b32 s44, 1
	s_cbranch_scc1 .LBB0_312
.LBB0_310:                              ;   in Loop: Header=BB0_290 Depth=2
	s_mov_b32 s45, 1
.LBB0_311:                              ;   Parent Loop BB0_225 Depth=1
                                        ;     Parent Loop BB0_290 Depth=2
                                        ; =>    This Inner Loop Header: Depth=3
	s_add_i32 s45, s45, 1
	s_cmp_lg_u32 s74, s45
	s_mul_i32 s44, s44, s45
	s_cbranch_scc1 .LBB0_311
.LBB0_312:                              ;   in Loop: Header=BB0_290 Depth=2
	v_subrev_nc_u32_e32 v97, s74, v5
	v_mov_b32_e32 v98, 1
	s_mov_b32 s45, exec_lo
	v_cmpx_lt_i32_e32 1, v97
	s_cbranch_execz .LBB0_289
; %bb.313:                              ;   in Loop: Header=BB0_290 Depth=2
	s_mov_b32 s75, 1
	s_mov_b32 s46, 0
	;; [unrolled: 1-line block ×3, first 2 shown]
.LBB0_314:                              ;   Parent Loop BB0_225 Depth=1
                                        ;     Parent Loop BB0_290 Depth=2
                                        ; =>    This Inner Loop Header: Depth=3
	s_add_i32 s77, s76, 2
	s_add_i32 s76, s76, 1
	s_mul_i32 s75, s75, s77
	v_cmp_eq_u32_e32 vcc_lo, s76, v87
	v_mov_b32_e32 v98, s75
	s_or_b32 s46, vcc_lo, s46
	s_andn2_b32 exec_lo, exec_lo, s46
	s_cbranch_execnz .LBB0_314
; %bb.315:                              ;   in Loop: Header=BB0_290 Depth=2
	s_or_b32 exec_lo, exec_lo, s46
	s_branch .LBB0_289
.LBB0_316:                              ;   in Loop: Header=BB0_225 Depth=1
	s_or_b32 exec_lo, exec_lo, s56
.LBB0_317:                              ;   in Loop: Header=BB0_225 Depth=1
	s_or_b32 exec_lo, exec_lo, s47
	v_mul_f32_e32 v0, v36, v85
	v_mul_f32_e32 v87, v67, v82
	buffer_store_dword v20, off, s[0:3], s32 offset:64
	v_cvt_f64_f32_e32 v[96:97], v0
	v_cvt_f64_f32_e32 v[98:99], v87
	v_fma_f64 v[96:97], v[98:99], 2.0, v[96:97]
	v_cvt_f32_f64_e32 v87, v[96:97]
	s_and_saveexec_b32 s44, s24
	s_cbranch_execz .LBB0_319
; %bb.318:                              ;   in Loop: Header=BB0_225 Depth=1
	v_mul_f32_e32 v0, v20, v87
	buffer_store_dword v0, off, s[0:3], s32 offset:92
.LBB0_319:                              ;   in Loop: Header=BB0_225 Depth=1
	s_or_b32 exec_lo, exec_lo, s44
	v_mul_f32_e32 v0, v17, v85
	v_mul_f32_e32 v85, v27, v82
	v_cvt_f64_f32_e32 v[96:97], v0
	v_cvt_f64_f32_e32 v[98:99], v85
	v_fma_f64 v[96:97], v[98:99], 2.0, v[96:97]
	v_cvt_f32_f64_e32 v0, v[96:97]
	s_and_saveexec_b32 s44, s25
	s_cbranch_execz .LBB0_321
; %bb.320:                              ;   in Loop: Header=BB0_225 Depth=1
	v_mul_f32_e32 v85, v20, v0
	buffer_store_dword v85, off, s[0:3], s32 offset:68
.LBB0_321:                              ;   in Loop: Header=BB0_225 Depth=1
	s_or_b32 exec_lo, exec_lo, s44
	s_and_saveexec_b32 s44, s26
	s_cbranch_execz .LBB0_324
; %bb.322:                              ;   in Loop: Header=BB0_225 Depth=1
	buffer_load_dword v85, off, s[0:3], s32 offset:92
	s_lshr_b32 s45, s32, 5
	s_mov_b32 s46, 1
	s_add_i32 s45, s45, 64
	s_mov_b32 s47, 0
.LBB0_323:                              ;   Parent Loop BB0_225 Depth=1
                                        ; =>  This Inner Loop Header: Depth=2
	v_mov_b32_e32 v96, s45
	v_cvt_f32_i32_e32 v98, s46
	s_add_i32 s46, s46, 1
	s_add_i32 s45, s45, 28
	v_cmp_eq_u32_e32 vcc_lo, s46, v16
	buffer_load_dword v97, v96, s[0:3], 0 offen
	v_mul_f32_e32 v98, v84, v98
	s_or_b32 s47, vcc_lo, s47
	s_waitcnt vmcnt(0)
	v_mul_f32_e32 v97, v97, v98
	v_fmac_f32_e32 v97, v85, v87
	v_mov_b32_e32 v85, v97
	buffer_store_dword v97, v96, s[0:3], 0 offen offset:56
	s_andn2_b32 exec_lo, exec_lo, s47
	s_cbranch_execnz .LBB0_323
.LBB0_324:                              ;   in Loop: Header=BB0_225 Depth=1
	s_or_b32 exec_lo, exec_lo, s44
	s_and_saveexec_b32 s44, s27
	s_cbranch_execz .LBB0_327
; %bb.325:                              ;   in Loop: Header=BB0_225 Depth=1
	buffer_load_dword v84, off, s[0:3], s32 offset:68
	s_lshr_b32 s45, s32, 5
	s_mov_b32 s46, 1
	s_add_i32 s45, s45, 64
	s_mov_b32 s47, 0
.LBB0_326:                              ;   Parent Loop BB0_225 Depth=1
                                        ; =>  This Inner Loop Header: Depth=2
	v_mov_b32_e32 v85, s45
	v_cvt_f32_i32_e32 v96, s46
	s_add_i32 s46, s46, 1
	s_add_i32 s45, s45, 4
	v_cmp_eq_u32_e32 vcc_lo, s46, v35
	buffer_load_dword v87, v85, s[0:3], 0 offen
	v_mul_f32_e32 v96, v83, v96
	s_or_b32 s47, vcc_lo, s47
	s_waitcnt vmcnt(0)
	v_mul_f32_e32 v87, v87, v96
	v_fmac_f32_e32 v87, v84, v0
	v_mov_b32_e32 v84, v87
	buffer_store_dword v87, v85, s[0:3], 0 offen offset:8
	s_andn2_b32 exec_lo, exec_lo, s47
	s_cbranch_execnz .LBB0_326
.LBB0_327:                              ;   in Loop: Header=BB0_225 Depth=1
	s_or_b32 exec_lo, exec_lo, s44
	s_and_saveexec_b32 s44, s62
	s_cbranch_execz .LBB0_333
; %bb.328:                              ;   in Loop: Header=BB0_225 Depth=1
	s_mov_b32 s47, 1
	s_mov_b32 s45, 0
	;; [unrolled: 1-line block ×3, first 2 shown]
	s_branch .LBB0_330
.LBB0_329:                              ;   in Loop: Header=BB0_330 Depth=2
	s_or_b32 exec_lo, exec_lo, s56
	v_cmp_eq_u32_e32 vcc_lo, s47, v16
	s_add_i32 s47, s47, 1
	s_add_i32 s46, s46, 28
	s_or_b32 s45, vcc_lo, s45
	s_andn2_b32 exec_lo, exec_lo, s45
	s_cbranch_execz .LBB0_333
.LBB0_330:                              ;   Parent Loop BB0_225 Depth=1
                                        ; =>  This Loop Header: Depth=2
                                        ;       Child Loop BB0_332 Depth 3
	s_mul_i32 s56, s47, 28
	s_lshr_b32 s74, s32, 5
	s_add_i32 s56, s74, s56
	s_add_i32 s56, s56, 64
	v_mov_b32_e32 v87, s56
	s_sub_i32 s56, s56, 28
	v_mov_b32_e32 v84, s56
	s_clause 0x1
	buffer_load_dword v85, v87, s[0:3], 0 offen
	buffer_load_dword v96, v84, s[0:3], 0 offen
	v_cvt_f32_u32_e32 v84, s47
	v_mul_f32_e32 v84, v82, v84
	s_waitcnt vmcnt(1)
	v_mul_f32_e32 v85, v85, v0
	s_waitcnt vmcnt(0)
	v_fmac_f32_e32 v85, v96, v84
	buffer_store_dword v85, v87, s[0:3], 0 offen offset:4
	s_and_saveexec_b32 s56, s27
	s_cbranch_execz .LBB0_329
; %bb.331:                              ;   in Loop: Header=BB0_330 Depth=2
	s_mov_b32 s74, 1
	s_mov_b32 s75, 0
	;; [unrolled: 1-line block ×3, first 2 shown]
	.p2align	6
.LBB0_332:                              ;   Parent Loop BB0_225 Depth=1
                                        ;     Parent Loop BB0_330 Depth=2
                                        ; =>    This Inner Loop Header: Depth=3
	v_mov_b32_e32 v87, s76
	v_cvt_f32_i32_e32 v98, s74
	s_add_i32 s74, s74, 1
	s_add_i32 s76, s76, 4
	v_cmp_eq_u32_e32 vcc_lo, s74, v35
	s_clause 0x1
	buffer_load_dword v96, v87, s[0:3], 0 offen offset:24
	buffer_load_dword v97, v87, s[0:3], 0 offen
	v_mul_f32_e32 v98, v83, v98
	s_or_b32 s75, vcc_lo, s75
	s_waitcnt vmcnt(1)
	v_mul_f32_e32 v96, v96, v98
	s_waitcnt vmcnt(0)
	v_fmac_f32_e32 v96, v84, v97
	v_fmac_f32_e32 v96, v85, v0
	v_mov_b32_e32 v85, v96
	buffer_store_dword v96, v87, s[0:3], 0 offen offset:32
	s_andn2_b32 exec_lo, exec_lo, s75
	s_cbranch_execnz .LBB0_332
	s_branch .LBB0_329
.LBB0_333:                              ;   in Loop: Header=BB0_225 Depth=1
	s_or_b32 exec_lo, exec_lo, s44
	v_mov_b32_e32 v82, 0
	s_and_saveexec_b32 s74, s28
	s_cbranch_execz .LBB0_224
; %bb.334:                              ;   in Loop: Header=BB0_225 Depth=1
	v_mov_b32_e32 v82, 0
	v_mov_b32_e32 v83, v80
	s_mov_b32 s75, 0
	s_mov_b32 s76, 0
	s_branch .LBB0_336
.LBB0_335:                              ;   in Loop: Header=BB0_336 Depth=2
	s_or_b32 exec_lo, exec_lo, s45
	v_cvt_f32_i32_e32 v85, v85
	v_mul_lo_u32 v87, v87, s44
	v_sub_nc_u32_e32 v117, 0, v0
	v_add_nc_u32_e32 v83, -1, v83
	v_cndmask_b32_e64 v98, v85, 1.0, s43
	v_max_i32_e32 v117, v0, v117
	v_xor_b32_e32 v0, v0, v87
	v_cmp_neq_f32_e32 vcc_lo, 0, v98
	v_ashrrev_i32_e32 v0, 31, v0
	v_cndmask_b32_e32 v85, 1.0, v30, vcc_lo
	v_frexp_mant_f32_e64 v96, |v85|
	v_cmp_gt_f32_e32 vcc_lo, 0x3f2aaaab, v96
	v_cndmask_b32_e64 v97, 1.0, 2.0, vcc_lo
	v_mul_f32_e32 v96, v96, v97
	v_add_f32_e32 v97, 1.0, v96
	v_add_f32_e32 v100, -1.0, v96
	v_rcp_f32_e32 v99, v97
	v_add_f32_e32 v102, -1.0, v97
	v_sub_f32_e32 v96, v96, v102
	v_mul_f32_e32 v101, v100, v99
	v_mul_f32_e32 v103, v97, v101
	v_fma_f32 v97, v101, v97, -v103
	v_fmac_f32_e32 v97, v101, v96
	v_add_f32_e32 v96, v103, v97
	v_sub_f32_e32 v102, v100, v96
	v_sub_f32_e32 v103, v96, v103
	;; [unrolled: 1-line block ×5, first 2 shown]
	v_add_f32_e32 v96, v97, v96
	v_add_f32_e32 v96, v102, v96
	v_mul_f32_e32 v96, v99, v96
	v_add_f32_e32 v99, v101, v96
	v_sub_f32_e32 v97, v99, v101
	v_mul_f32_e32 v100, v99, v99
	v_sub_f32_e32 v101, v96, v97
	v_fma_f32 v96, v99, v99, -v100
	v_add_f32_e32 v97, v101, v101
	v_fmac_f32_e32 v96, v99, v97
	v_add_f32_e32 v102, v100, v96
	v_fmaak_f32 v97, s63, v102, 0x3e91f4c4
	v_sub_f32_e32 v100, v102, v100
	v_mul_f32_e32 v115, v99, v102
	v_fmaak_f32 v97, v102, v97, 0x3ecccdef
	v_sub_f32_e32 v100, v96, v100
	v_fma_f32 v116, v102, v99, -v115
	v_mul_f32_e32 v103, v102, v97
	v_fmac_f32_e32 v116, v102, v101
	v_ldexp_f32 v101, v101, 1
	v_fma_f32 v112, v102, v97, -v103
	v_fmac_f32_e32 v116, v100, v99
	v_fmac_f32_e32 v112, v100, v97
	v_cvt_f64_f32_e64 v[96:97], |v85|
	v_add_f32_e32 v113, v103, v112
	v_sub_f32_e32 v103, v113, v103
	v_add_f32_e32 v114, 0x3f2aaaaa, v113
	v_sub_f32_e32 v103, v112, v103
	v_add_f32_e32 v112, 0xbf2aaaaa, v114
	v_add_f32_e32 v103, 0x31739010, v103
	v_sub_f32_e32 v112, v113, v112
	v_frexp_exp_i32_f64_e32 v96, v[96:97]
	v_add_f32_e32 v102, v103, v112
	v_add_f32_e32 v103, v115, v116
	;; [unrolled: 1-line block ×3, first 2 shown]
	v_sub_f32_e32 v113, v103, v115
	v_sub_f32_e32 v97, v114, v100
	v_mul_f32_e32 v112, v103, v100
	v_sub_f32_e32 v113, v116, v113
	v_add_f32_e32 v97, v102, v97
	v_fma_f32 v102, v103, v100, -v112
	v_subrev_co_ci_u32_e64 v96, null, 0, v96, vcc_lo
	v_fmac_f32_e32 v102, v103, v97
	v_ldexp_f32 v97, v99, 1
	v_cvt_f32_i32_e32 v96, v96
	v_fmac_f32_e32 v102, v113, v100
	v_add_f32_e32 v99, v112, v102
	v_add_f32_e32 v100, v97, v99
	v_sub_f32_e32 v103, v99, v112
	v_mul_f32_e32 v112, 0x3f317218, v96
	v_sub_f32_e32 v97, v100, v97
	v_sub_f32_e32 v102, v102, v103
	v_fma_f32 v103, 0x3f317218, v96, -v112
	v_sub_f32_e32 v97, v99, v97
	v_add_f32_e32 v99, v101, v102
	v_fmac_f32_e32 v103, 0xb102e308, v96
	v_add_f32_e32 v96, v99, v97
	v_add_f32_e32 v97, v112, v103
	;; [unrolled: 1-line block ×3, first 2 shown]
	v_sub_f32_e32 v112, v97, v112
	v_add_f32_e32 v101, v97, v99
	v_sub_f32_e32 v100, v99, v100
	v_sub_f32_e32 v103, v103, v112
	v_sub_f32_e32 v102, v101, v97
	v_sub_f32_e32 v96, v96, v100
	v_sub_f32_e32 v113, v101, v102
	v_sub_f32_e32 v99, v99, v102
	v_add_f32_e32 v100, v103, v96
	v_sub_f32_e32 v97, v97, v113
	v_add_f32_e32 v97, v99, v97
	v_sub_f32_e32 v99, v100, v103
	;; [unrolled: 2-line block ×3, first 2 shown]
	v_sub_f32_e32 v96, v96, v99
	v_add_f32_e32 v102, v101, v97
	v_sub_f32_e32 v99, v103, v100
	v_sub_f32_e32 v100, v102, v101
	v_add_f32_e32 v96, v96, v99
	v_sub_nc_u32_e32 v101, 0, v87
	v_sub_f32_e32 v97, v97, v100
	v_add_f32_e32 v96, v96, v97
	v_add_f32_e32 v97, v102, v96
	v_sub_f32_e32 v99, v97, v102
	v_mul_f32_e32 v100, v98, v97
	v_sub_f32_e32 v96, v96, v99
	v_fma_f32 v97, v98, v97, -v100
	v_max_i32_e32 v99, v87, v101
	v_cmp_class_f32_e64 vcc_lo, v100, 0x204
	v_trunc_f32_e32 v87, v98
	v_fmac_f32_e32 v97, v98, v96
	v_cvt_f32_u32_e32 v96, v99
	v_sub_nc_u32_e32 v112, 0, v99
	v_cmp_eq_f32_e64 s44, v87, v98
	v_add_f32_e32 v101, v100, v97
	v_rcp_iflag_f32_e32 v96, v96
	v_cndmask_b32_e32 v102, v101, v100, vcc_lo
	v_sub_f32_e32 v100, v101, v100
	v_cmp_eq_f32_e32 vcc_lo, 0x42b17218, v102
	v_mul_f32_e32 v96, 0x4f7ffffe, v96
	v_sub_f32_e32 v87, v97, v100
	v_cmp_neq_f32_e64 s45, 0x7f800000, |v102|
	v_cndmask_b32_e64 v103, 0, 0x37000000, vcc_lo
	v_cvt_u32_f32_e32 v96, v96
	v_cmp_gt_f32_e32 vcc_lo, 0, v98
	v_cndmask_b32_e64 v87, 0, v87, s45
	v_sub_f32_e32 v113, v102, v103
	v_mul_lo_u32 v112, v112, v96
	v_add_f32_e32 v87, v103, v87
	v_mul_f32_e32 v114, 0x3fb8aa3b, v113
	v_cmp_ngt_f32_e64 s45, 0xc2ce8ed0, v113
	v_mul_hi_u32 v112, v96, v112
	v_fma_f32 v115, 0x3fb8aa3b, v113, -v114
	v_rndne_f32_e32 v116, v114
	v_fmac_f32_e32 v115, 0x32a5705f, v113
	v_sub_f32_e32 v114, v114, v116
	v_add_nc_u32_e32 v96, v96, v112
	v_cvt_i32_f32_e32 v101, v116
	v_add_f32_e32 v114, v114, v115
	v_mul_hi_u32 v96, v117, v96
	v_exp_f32_e32 v112, v114
	v_mul_f32_e32 v114, 0.5, v98
	v_mul_lo_u32 v97, v96, v99
	v_trunc_f32_e32 v100, v114
	v_ldexp_f32 v98, v112, v101
	v_cmp_neq_f32_e64 s46, v100, v114
	v_sub_nc_u32_e32 v97, v117, v97
	v_add_nc_u32_e32 v101, 1, v96
	v_cndmask_b32_e64 v98, 0, v98, s45
	v_cmp_nlt_f32_e64 s45, 0x42b17218, v113
	v_cmp_ge_u32_e64 s47, v97, v99
	v_sub_nc_u32_e32 v100, v97, v99
	s_and_b32 s46, s44, s46
	v_cndmask_b32_e64 v98, 0x7f800000, v98, s45
	v_cmp_eq_f32_e64 s45, 0, v85
	v_cndmask_b32_e64 v96, v96, v101, s47
	v_cndmask_b32_e64 v101, 1.0, v85, s46
	v_cndmask_b32_e64 v97, v97, v100, s47
	v_fma_f32 v87, v98, v87, v98
	v_cmp_class_f32_e64 s56, v98, 0x204
	s_xor_b32 s47, vcc_lo, s45
	v_cmp_ge_u32_e32 vcc_lo, v97, v99
	v_cndmask_b32_e64 v100, 0x7f800000, 0, s47
	v_cndmask_b32_e64 v87, v87, v98, s56
	v_add_nc_u32_e32 v98, 1, v96
	v_bfi_b32 v87, 0x7fffffff, v87, v101
	v_cndmask_b32_e64 v101, 0, v85, s46
	v_cndmask_b32_e32 v96, v96, v98, vcc_lo
	v_cmp_gt_f32_e32 vcc_lo, 0, v85
	v_cndmask_b32_e64 v97, 0x7fc00000, v87, s44
	v_cmp_class_f32_e64 s44, v85, 0x204
	v_bfi_b32 v98, 0x7fffffff, v100, v101
	v_xor_b32_e32 v96, v96, v0
	v_cndmask_b32_e32 v87, v87, v97, vcc_lo
	s_or_b32 vcc_lo, s45, s44
	v_sub_nc_u32_e32 v0, v96, v0
	v_cndmask_b32_e32 v87, v87, v98, vcc_lo
	v_cmp_o_f32_e32 vcc_lo, v85, v85
	v_cvt_f32_i32_e32 v0, v0
	v_cndmask_b32_e32 v85, 0x7fc00000, v87, vcc_lo
	v_cmp_eq_u32_e32 vcc_lo, s76, v6
	s_add_i32 s76, s76, 1
	v_mul_f32_e32 v0, v85, v0
	s_or_b32 s75, vcc_lo, s75
	v_fmac_f32_e32 v82, v84, v0
	s_andn2_b32 exec_lo, exec_lo, s75
	s_cbranch_execz .LBB0_223
.LBB0_336:                              ;   Parent Loop BB0_225 Depth=1
                                        ; =>  This Loop Header: Depth=2
                                        ;       Child Loop BB0_339 Depth 3
                                        ;         Child Loop BB0_341 Depth 4
                                        ;         Child Loop BB0_345 Depth 4
	;; [unrolled: 1-line block ×3, first 2 shown]
                                        ;       Child Loop BB0_352 Depth 3
                                        ;       Child Loop BB0_357 Depth 3
	;; [unrolled: 1-line block ×3, first 2 shown]
	v_mov_b32_e32 v84, 0
	s_and_saveexec_b32 s47, s29
	s_cbranch_execz .LBB0_350
; %bb.337:                              ;   in Loop: Header=BB0_336 Depth=2
	v_lshl_add_u32 v0, s76, 2, v12
	v_mov_b32_e32 v84, 0
	v_mov_b32_e32 v85, v71
	s_mov_b32 s56, 0
	s_mov_b32 s77, 0
	s_branch .LBB0_339
.LBB0_338:                              ;   in Loop: Header=BB0_339 Depth=3
	s_or_b32 exec_lo, exec_lo, s45
	v_mul_lo_u32 v97, v97, s44
	v_sub_nc_u32_e32 v99, 0, v96
	v_cvt_f32_i32_e32 v87, v87
	v_add_nc_u32_e32 v85, -1, v85
	v_cndmask_b32_e64 v87, v87, 1.0, s41
	v_xor_b32_e32 v98, v96, v97
	v_max_i32_e32 v96, v96, v99
	v_sub_nc_u32_e32 v99, 0, v97
	v_cmp_gt_f32_e64 s46, 0, v87
	v_ashrrev_i32_e32 v98, 31, v98
	v_max_i32_e32 v97, v97, v99
	v_cvt_f32_u32_e32 v99, v97
	v_sub_nc_u32_e32 v100, 0, v97
	v_rcp_iflag_f32_e32 v99, v99
	v_mul_f32_e32 v99, 0x4f7ffffe, v99
	v_cvt_u32_f32_e32 v99, v99
	v_mul_lo_u32 v100, v100, v99
	v_mul_hi_u32 v100, v99, v100
	v_add_nc_u32_e32 v99, v99, v100
	v_mul_hi_u32 v99, v96, v99
	v_mul_lo_u32 v100, v99, v97
	v_sub_nc_u32_e32 v96, v96, v100
	v_add_nc_u32_e32 v100, 1, v99
	v_cmp_ge_u32_e32 vcc_lo, v96, v97
	v_cndmask_b32_e32 v99, v99, v100, vcc_lo
	v_sub_nc_u32_e32 v100, v96, v97
	v_cndmask_b32_e32 v96, v96, v100, vcc_lo
	v_cmp_ge_u32_e32 vcc_lo, v96, v97
	v_add_nc_u32_e32 v96, 1, v99
	v_cndmask_b32_e32 v96, v99, v96, vcc_lo
	v_cmp_neq_f32_e32 vcc_lo, 0, v87
	v_xor_b32_e32 v96, v96, v98
	v_cndmask_b32_e32 v99, 1.0, v29, vcc_lo
	v_sub_nc_u32_e32 v96, v96, v98
	v_cmp_gt_f32_e64 s45, 0, v99
	v_cvt_f32_i32_e32 v98, v96
	v_frexp_mant_f32_e64 v96, |v99|
	v_cmp_gt_f32_e32 vcc_lo, 0x3f2aaaab, v96
	v_cndmask_b32_e64 v97, 1.0, 2.0, vcc_lo
	v_mul_f32_e32 v96, v96, v97
	v_add_f32_e32 v100, 1.0, v96
	v_add_f32_e32 v97, -1.0, v96
	v_add_f32_e32 v101, -1.0, v100
	v_sub_f32_e32 v96, v96, v101
	v_rcp_f32_e32 v101, v100
	v_mul_f32_e32 v102, v97, v101
	v_mul_f32_e32 v103, v100, v102
	v_fma_f32 v100, v102, v100, -v103
	v_fmac_f32_e32 v100, v102, v96
	v_add_f32_e32 v96, v103, v100
	v_sub_f32_e32 v112, v97, v96
	v_sub_f32_e32 v103, v96, v103
	;; [unrolled: 1-line block ×5, first 2 shown]
	v_add_f32_e32 v96, v97, v96
	v_add_f32_e32 v96, v112, v96
	v_mul_f32_e32 v96, v101, v96
	v_add_f32_e32 v100, v102, v96
	v_sub_f32_e32 v97, v100, v102
	v_sub_f32_e32 v101, v96, v97
	v_mul_f32_e32 v96, v100, v100
	v_add_f32_e32 v102, v101, v101
	v_fma_f32 v97, v100, v100, -v96
	v_fmac_f32_e32 v97, v100, v102
	v_add_f32_e32 v102, v96, v97
	v_sub_f32_e32 v96, v102, v96
	v_fmaak_f32 v103, s63, v102, 0x3e91f4c4
	v_sub_f32_e32 v96, v97, v96
	v_mul_f32_e32 v97, v100, v102
	v_fmaak_f32 v103, v102, v103, 0x3ecccdef
	v_fma_f32 v112, v102, v100, -v97
	v_fmac_f32_e32 v112, v102, v101
	v_fmac_f32_e32 v112, v96, v100
	v_ldexp_f32 v100, v100, 1
	v_add_f32_e32 v113, v97, v112
	v_sub_f32_e32 v97, v113, v97
	v_sub_f32_e32 v97, v112, v97
	v_mul_f32_e32 v112, v102, v103
	v_fma_f32 v102, v102, v103, -v112
	v_fmac_f32_e32 v102, v96, v103
	v_add_f32_e32 v96, v112, v102
	v_add_f32_e32 v103, 0x3f2aaaaa, v96
	v_sub_f32_e32 v112, v96, v112
	v_sub_f32_e32 v102, v102, v112
	v_add_f32_e32 v112, 0xbf2aaaaa, v103
	v_add_f32_e32 v102, 0x31739010, v102
	v_sub_f32_e32 v96, v96, v112
	v_add_f32_e32 v96, v102, v96
	v_add_f32_e32 v102, v103, v96
	v_sub_f32_e32 v103, v103, v102
	v_add_f32_e32 v96, v96, v103
	v_mul_f32_e32 v103, v113, v102
	v_fma_f32 v112, v113, v102, -v103
	v_fmac_f32_e32 v112, v113, v96
	v_fmac_f32_e32 v112, v97, v102
	v_cvt_f64_f32_e64 v[96:97], |v99|
	v_frexp_exp_i32_f64_e32 v96, v[96:97]
	v_subrev_co_ci_u32_e64 v96, null, 0, v96, vcc_lo
	v_cvt_f32_i32_e32 v96, v96
	v_mul_f32_e32 v97, 0x3f317218, v96
	v_fma_f32 v102, 0x3f317218, v96, -v97
	v_fmac_f32_e32 v102, 0xb102e308, v96
	v_ldexp_f32 v96, v101, 1
	v_add_f32_e32 v101, v97, v102
	v_sub_f32_e32 v97, v101, v97
	v_sub_f32_e32 v97, v102, v97
	v_add_f32_e32 v102, v103, v112
	v_sub_f32_e32 v103, v102, v103
	v_sub_f32_e32 v103, v112, v103
	v_add_f32_e32 v112, v100, v102
	v_add_f32_e32 v96, v96, v103
	v_sub_f32_e32 v100, v112, v100
	v_sub_f32_e32 v100, v102, v100
	v_add_f32_e32 v96, v96, v100
	;; [unrolled: 4-line block ×3, first 2 shown]
	v_sub_f32_e32 v103, v102, v101
	v_sub_f32_e32 v112, v102, v103
	;; [unrolled: 1-line block ×4, first 2 shown]
	v_add_f32_e32 v100, v100, v101
	v_add_f32_e32 v101, v97, v96
	v_sub_f32_e32 v103, v101, v97
	v_sub_f32_e32 v112, v101, v103
	;; [unrolled: 1-line block ×4, first 2 shown]
	v_add_f32_e32 v96, v96, v97
	v_add_f32_e32 v97, v101, v100
	;; [unrolled: 1-line block ×3, first 2 shown]
	v_sub_f32_e32 v101, v100, v102
	v_sub_f32_e32 v97, v97, v101
	v_add_f32_e32 v96, v96, v97
	v_add_f32_e32 v97, v100, v96
	v_sub_f32_e32 v100, v97, v100
	v_sub_f32_e32 v96, v96, v100
	v_mul_f32_e32 v100, v87, v97
	v_fma_f32 v97, v87, v97, -v100
	v_cmp_class_f32_e64 vcc_lo, v100, 0x204
	v_fmac_f32_e32 v97, v87, v96
	v_add_f32_e32 v96, v100, v97
	v_sub_f32_e32 v101, v96, v100
	v_cndmask_b32_e32 v96, v96, v100, vcc_lo
	v_sub_f32_e32 v97, v97, v101
	v_cmp_neq_f32_e64 vcc_lo, 0x7f800000, |v96|
	v_cndmask_b32_e32 v97, 0, v97, vcc_lo
	v_cmp_eq_f32_e32 vcc_lo, 0x42b17218, v96
	v_cndmask_b32_e64 v100, 0, 0x37000000, vcc_lo
	v_sub_f32_e32 v96, v96, v100
	v_add_f32_e32 v97, v100, v97
	v_mul_f32_e32 v100, 0x3fb8aa3b, v96
	v_cmp_ngt_f32_e32 vcc_lo, 0xc2ce8ed0, v96
	v_fma_f32 v101, 0x3fb8aa3b, v96, -v100
	v_rndne_f32_e32 v102, v100
	v_fmac_f32_e32 v101, 0x32a5705f, v96
	v_sub_f32_e32 v100, v100, v102
	v_add_f32_e32 v100, v100, v101
	v_cvt_i32_f32_e32 v101, v102
	v_exp_f32_e32 v100, v100
	v_ldexp_f32 v100, v100, v101
	v_cndmask_b32_e32 v100, 0, v100, vcc_lo
	v_cmp_nlt_f32_e32 vcc_lo, 0x42b17218, v96
	v_cndmask_b32_e32 v96, 0x7f800000, v100, vcc_lo
	v_fma_f32 v97, v96, v97, v96
	v_cmp_class_f32_e64 vcc_lo, v96, 0x204
	v_cndmask_b32_e32 v96, v97, v96, vcc_lo
	v_trunc_f32_e32 v97, v87
	v_cmp_eq_f32_e32 vcc_lo, v97, v87
	v_mul_f32_e32 v97, 0.5, v87
	v_trunc_f32_e32 v100, v97
	v_cmp_neq_f32_e64 s44, v100, v97
	s_and_b32 s44, vcc_lo, s44
	v_cndmask_b32_e64 v97, 1.0, v99, s44
	v_bfi_b32 v96, 0x7fffffff, v96, v97
	v_cndmask_b32_e32 v97, 0x7fc00000, v96, vcc_lo
	v_cmp_eq_f32_e32 vcc_lo, 0, v99
	v_cndmask_b32_e64 v96, v96, v97, s45
	s_xor_b32 s46, s46, vcc_lo
	v_cndmask_b32_e64 v97, 0, v99, s44
	v_cndmask_b32_e64 v87, 0x7f800000, 0, s46
	v_cmp_class_f32_e64 s45, v99, 0x204
	s_add_i32 s44, s77, 1
	v_bfi_b32 v87, 0x7fffffff, v87, v97
	s_or_b32 s45, vcc_lo, s45
	v_cmp_o_f32_e32 vcc_lo, v99, v99
	v_cndmask_b32_e64 v87, v96, v87, s45
	v_mad_u64_u32 v[96:97], null, s77, 28, v[0:1]
	v_cndmask_b32_e32 v87, 0x7fc00000, v87, vcc_lo
	v_cmp_eq_u32_e32 vcc_lo, s77, v3
	s_mov_b32 s77, s44
	buffer_load_dword v96, v96, s[0:3], 0 offen
	v_mul_f32_e32 v87, v87, v98
	s_or_b32 s56, vcc_lo, s56
	s_waitcnt vmcnt(0)
	v_fmac_f32_e32 v84, v96, v87
	s_andn2_b32 exec_lo, exec_lo, s56
	s_cbranch_execz .LBB0_354
.LBB0_339:                              ;   Parent Loop BB0_225 Depth=1
                                        ;     Parent Loop BB0_336 Depth=2
                                        ; =>    This Loop Header: Depth=3
                                        ;         Child Loop BB0_341 Depth 4
                                        ;         Child Loop BB0_345 Depth 4
	;; [unrolled: 1-line block ×3, first 2 shown]
	v_mov_b32_e32 v96, 1
	s_and_saveexec_b32 s44, s40
	s_cbranch_execz .LBB0_343
; %bb.340:                              ;   in Loop: Header=BB0_339 Depth=3
	s_mov_b32 s46, 1
	s_mov_b32 s45, 0
	s_mov_b32 s78, 1
.LBB0_341:                              ;   Parent Loop BB0_225 Depth=1
                                        ;     Parent Loop BB0_336 Depth=2
                                        ;       Parent Loop BB0_339 Depth=3
                                        ; =>      This Inner Loop Header: Depth=4
	s_add_i32 s46, s46, 1
	v_cmp_eq_u32_e32 vcc_lo, s46, v3
	s_mul_i32 s78, s78, s46
	v_mov_b32_e32 v96, s78
	s_or_b32 s45, vcc_lo, s45
	s_andn2_b32 exec_lo, exec_lo, s45
	s_cbranch_execnz .LBB0_341
; %bb.342:                              ;   in Loop: Header=BB0_339 Depth=3
	s_or_b32 exec_lo, exec_lo, s45
.LBB0_343:                              ;   in Loop: Header=BB0_339 Depth=3
	s_or_b32 exec_lo, exec_lo, s44
	s_cmp_lt_u32 s77, 2
	s_mov_b32 s44, 1
	s_cbranch_scc1 .LBB0_346
; %bb.344:                              ;   in Loop: Header=BB0_339 Depth=3
	s_mov_b32 s45, 1
.LBB0_345:                              ;   Parent Loop BB0_225 Depth=1
                                        ;     Parent Loop BB0_336 Depth=2
                                        ;       Parent Loop BB0_339 Depth=3
                                        ; =>      This Inner Loop Header: Depth=4
	s_add_i32 s45, s45, 1
	s_cmp_lg_u32 s77, s45
	s_mul_i32 s44, s44, s45
	s_cbranch_scc1 .LBB0_345
.LBB0_346:                              ;   in Loop: Header=BB0_339 Depth=3
	v_subrev_nc_u32_e32 v87, s77, v3
	v_mov_b32_e32 v97, 1
	s_mov_b32 s45, exec_lo
	v_cmpx_lt_i32_e32 1, v87
	s_cbranch_execz .LBB0_338
; %bb.347:                              ;   in Loop: Header=BB0_339 Depth=3
	s_mov_b32 s78, 1
	s_mov_b32 s46, 0
	;; [unrolled: 1-line block ×3, first 2 shown]
.LBB0_348:                              ;   Parent Loop BB0_225 Depth=1
                                        ;     Parent Loop BB0_336 Depth=2
                                        ;       Parent Loop BB0_339 Depth=3
                                        ; =>      This Inner Loop Header: Depth=4
	s_add_i32 s88, s79, 2
	s_add_i32 s79, s79, 1
	s_mul_i32 s78, s78, s88
	v_cmp_eq_u32_e32 vcc_lo, s79, v85
	v_mov_b32_e32 v97, s78
	s_or_b32 s46, vcc_lo, s46
	s_andn2_b32 exec_lo, exec_lo, s46
	s_cbranch_execnz .LBB0_348
; %bb.349:                              ;   in Loop: Header=BB0_339 Depth=3
	s_or_b32 exec_lo, exec_lo, s46
	s_branch .LBB0_338
.LBB0_350:                              ;   in Loop: Header=BB0_336 Depth=2
	s_or_b32 exec_lo, exec_lo, s47
	v_mov_b32_e32 v0, 1
	s_and_saveexec_b32 s44, s42
	s_cbranch_execz .LBB0_355
.LBB0_351:                              ;   in Loop: Header=BB0_336 Depth=2
	s_mov_b32 s46, 1
	s_mov_b32 s45, 0
	;; [unrolled: 1-line block ×3, first 2 shown]
.LBB0_352:                              ;   Parent Loop BB0_225 Depth=1
                                        ;     Parent Loop BB0_336 Depth=2
                                        ; =>    This Inner Loop Header: Depth=3
	s_add_i32 s46, s46, 1
	v_cmp_eq_u32_e32 vcc_lo, s46, v6
	s_mul_i32 s47, s47, s46
	v_mov_b32_e32 v0, s47
	s_or_b32 s45, vcc_lo, s45
	s_andn2_b32 exec_lo, exec_lo, s45
	s_cbranch_execnz .LBB0_352
; %bb.353:                              ;   in Loop: Header=BB0_336 Depth=2
	s_or_b32 exec_lo, exec_lo, s45
	s_or_b32 exec_lo, exec_lo, s44
	s_cmp_lt_u32 s76, 2
	s_mov_b32 s44, 1
	s_cbranch_scc1 .LBB0_358
	s_branch .LBB0_356
.LBB0_354:                              ;   in Loop: Header=BB0_336 Depth=2
	s_or_b32 exec_lo, exec_lo, s56
	s_or_b32 exec_lo, exec_lo, s47
	v_mov_b32_e32 v0, 1
	s_and_saveexec_b32 s44, s42
	s_cbranch_execnz .LBB0_351
.LBB0_355:                              ;   in Loop: Header=BB0_336 Depth=2
	s_or_b32 exec_lo, exec_lo, s44
	s_cmp_lt_u32 s76, 2
	s_mov_b32 s44, 1
	s_cbranch_scc1 .LBB0_358
.LBB0_356:                              ;   in Loop: Header=BB0_336 Depth=2
	s_mov_b32 s45, 1
.LBB0_357:                              ;   Parent Loop BB0_225 Depth=1
                                        ;     Parent Loop BB0_336 Depth=2
                                        ; =>    This Inner Loop Header: Depth=3
	s_add_i32 s45, s45, 1
	s_cmp_lg_u32 s76, s45
	s_mul_i32 s44, s44, s45
	s_cbranch_scc1 .LBB0_357
.LBB0_358:                              ;   in Loop: Header=BB0_336 Depth=2
	v_subrev_nc_u32_e32 v85, s76, v6
	v_mov_b32_e32 v87, 1
	s_mov_b32 s45, exec_lo
	v_cmpx_lt_i32_e32 1, v85
	s_cbranch_execz .LBB0_335
; %bb.359:                              ;   in Loop: Header=BB0_336 Depth=2
	s_mov_b32 s47, 1
	s_mov_b32 s46, 0
	s_mov_b32 s56, 0
.LBB0_360:                              ;   Parent Loop BB0_225 Depth=1
                                        ;     Parent Loop BB0_336 Depth=2
                                        ; =>    This Inner Loop Header: Depth=3
	s_add_i32 s77, s56, 2
	s_add_i32 s56, s56, 1
	s_mul_i32 s47, s47, s77
	v_cmp_eq_u32_e32 vcc_lo, s56, v83
	v_mov_b32_e32 v87, s47
	s_or_b32 s46, vcc_lo, s46
	s_andn2_b32 exec_lo, exec_lo, s46
	s_cbranch_execnz .LBB0_360
; %bb.361:                              ;   in Loop: Header=BB0_336 Depth=2
	s_or_b32 exec_lo, exec_lo, s46
	s_branch .LBB0_335
.LBB0_362:
	s_or_b32 exec_lo, exec_lo, s58
.LBB0_363:
	s_or_b32 exec_lo, exec_lo, s57
	v_mul_f32_e32 v0, 0x4f800000, v8
	v_cmp_gt_f32_e32 vcc_lo, 0xf800000, v8
	v_cndmask_b32_e32 v0, v8, v0, vcc_lo
	v_sqrt_f32_e32 v1, v0
	v_add_nc_u32_e32 v2, -1, v1
	v_add_nc_u32_e32 v3, 1, v1
	v_fma_f32 v4, -v2, v1, v0
	v_fma_f32 v5, -v3, v1, v0
	v_cmp_ge_f32_e64 s4, 0, v4
	v_cvt_f32_f64_e32 v4, v[10:11]
	v_cndmask_b32_e64 v1, v1, v2, s4
	v_cmp_lt_f32_e64 s4, 0, v5
	v_cvt_f32_f64_e32 v2, v[14:15]
	v_cndmask_b32_e64 v1, v1, v3, s4
	v_mul_f32_e32 v3, 0x37800000, v1
	v_cndmask_b32_e32 v1, v1, v3, vcc_lo
	v_cmp_class_f32_e64 vcc_lo, v0, 0x260
	v_cvt_f32_f64_e32 v3, v[22:23]
	v_cndmask_b32_e32 v0, v1, v0, vcc_lo
	v_cvt_f32_f64_e32 v1, v[18:19]
	v_mul_f32_e32 v0, 0x3f906ebb, v0
	v_mul_f32_e32 v0, v0, v2
	;; [unrolled: 1-line block ×6, first 2 shown]
	s_setpc_b64 s[30:31]
.LBB0_364:
	s_or_b32 exec_lo, exec_lo, s7
                                        ; implicit-def: $vgpr65
	s_andn2_saveexec_b32 s7, s11
	s_cbranch_execnz .LBB0_175
.LBB0_365:
	s_or_b32 exec_lo, exec_lo, s7
                                        ; implicit-def: $vgpr65
	s_andn2_saveexec_b32 s7, s10
	s_cbranch_execnz .LBB0_189
.LBB0_366:
	s_or_b32 exec_lo, exec_lo, s7
                                        ; implicit-def: $vgpr65
	s_andn2_saveexec_b32 s5, s9
	s_cbranch_execnz .LBB0_203
	s_branch .LBB0_216
.Lfunc_end0:
	.size	_Z12cuda_rys_pbfPKdS0_S0_S0_, .Lfunc_end0-_Z12cuda_rys_pbfPKdS0_S0_S0_
                                        ; -- End function
	.set .L_Z12cuda_rys_pbfPKdS0_S0_S0_.num_vgpr, 120
	.set .L_Z12cuda_rys_pbfPKdS0_S0_S0_.num_agpr, 0
	.set .L_Z12cuda_rys_pbfPKdS0_S0_S0_.numbered_sgpr, 89
	.set .L_Z12cuda_rys_pbfPKdS0_S0_S0_.num_named_barrier, 0
	.set .L_Z12cuda_rys_pbfPKdS0_S0_S0_.private_seg_size, 272
	.set .L_Z12cuda_rys_pbfPKdS0_S0_S0_.uses_vcc, 1
	.set .L_Z12cuda_rys_pbfPKdS0_S0_S0_.uses_flat_scratch, 1
	.set .L_Z12cuda_rys_pbfPKdS0_S0_S0_.has_dyn_sized_stack, 0
	.set .L_Z12cuda_rys_pbfPKdS0_S0_S0_.has_recursion, 0
	.set .L_Z12cuda_rys_pbfPKdS0_S0_S0_.has_indirect_call, 0
	.section	.AMDGPU.csdata,"",@progbits
; Function info:
; codeLenInByte = 49088
; TotalNumSgprs: 91
; NumVgprs: 120
; ScratchSize: 272
; MemoryBound: 0
	.text
	.protected	_Z13cuda_mat_J_PIPKdPKiiS0_PdS0_ ; -- Begin function _Z13cuda_mat_J_PIPKdPKiiS0_PdS0_
	.globl	_Z13cuda_mat_J_PIPKdPKiiS0_PdS0_
	.p2align	8
	.type	_Z13cuda_mat_J_PIPKdPKiiS0_PdS0_,@function
_Z13cuda_mat_J_PIPKdPKiiS0_PdS0_:       ; @_Z13cuda_mat_J_PIPKdPKiiS0_PdS0_
; %bb.0:
	s_load_dword s33, s[4:5], 0x10
	s_add_u32 s0, s0, s8
	s_addc_u32 s1, s1, 0
	s_mov_b32 s34, s6
	s_mov_b32 s48, s7
	s_mov_b32 s32, 0
	s_waitcnt lgkmcnt(0)
	s_cmp_ge_i32 s6, s33
	s_cselect_b32 s6, -1, 0
	s_cmp_gt_i32 s7, s34
	s_cselect_b32 s7, -1, 0
	s_or_b32 s6, s7, s6
	s_and_b32 vcc_lo, exec_lo, s6
	s_cbranch_vccnz .LBB1_12
; %bb.1:
	s_load_dwordx2 s[50:51], s[4:5], 0x20
	v_mov_b32_e32 v40, v1
	v_mov_b32_e32 v41, v0
	;; [unrolled: 1-line block ×3, first 2 shown]
	s_mov_b32 s70, 0
	s_mov_b32 s71, exec_lo
	v_lshlrev_b32_e32 v72, 3, v40
	v_mov_b32_e32 v44, v45
	v_lshl_add_u32 v73, v41, 6, v72
	ds_write_b64 v73, v[44:45]
	v_cmpx_gt_i32_e64 s33, v41
	s_cbranch_execz .LBB1_10
; %bb.2:
	s_clause 0x1
	s_load_dwordx4 s[36:39], s[4:5], 0x0
	s_load_dwordx2 s[52:53], s[4:5], 0x18
	s_lshl_b32 s6, s34, 3
	s_load_dwordx2 s[54:55], s[4:5], 0x28
	s_ashr_i32 s7, s6, 31
	v_lshlrev_b32_e32 v0, 2, v40
	s_lshl_b64 s[6:7], s[6:7], 3
	v_mov_b32_e32 v46, 0
	v_mov_b32_e32 v47, 0
	;; [unrolled: 1-line block ×3, first 2 shown]
	s_mov_b32 s64, 0x97d889bc
	s_mov_b32 s65, 0x3c9cd2b2
	s_waitcnt lgkmcnt(0)
	s_add_u32 s80, s36, s6
	s_addc_u32 s81, s37, s7
	s_lshl_b32 s6, s48, 3
	s_ashr_i32 s7, s6, 31
	s_lshl_b64 s[6:7], s[6:7], 3
	s_add_u32 s82, s36, s6
	s_addc_u32 s83, s37, s7
	s_ashr_i32 s35, s34, 31
	s_lshl_b64 s[6:7], s[34:35], 2
	s_add_u32 s6, s38, s6
	s_addc_u32 s7, s39, s7
	;; [unrolled: 4-line block ×3, first 2 shown]
	s_clause 0x1
	s_load_dword s6, s[6:7], 0x0
	s_load_dword s7, s[8:9], 0x0
	s_waitcnt lgkmcnt(0)
	s_max_i32 s8, s6, s7
	s_add_i32 s4, s8, 1
	s_mul_i32 s4, s4, s8
	s_lshr_b32 s5, s4, 31
	s_add_i32 s4, s4, s5
	s_min_i32 s5, s6, s7
	s_ashr_i32 s4, s4, 1
	v_add_co_u32 v58, s6, s38, v0
	s_add_i32 s4, s4, s5
	v_add_co_ci_u32_e64 v59, null, s39, 0, s6
	s_ashr_i32 s5, s4, 31
	s_lshl_b64 s[4:5], s[4:5], 3
	s_add_u32 s66, s54, s4
	s_addc_u32 s67, s55, s5
	s_branch .LBB1_5
.LBB1_3:                                ;   in Loop: Header=BB1_5 Depth=1
	s_or_b32 exec_lo, exec_lo, s49
.LBB1_4:                                ;   in Loop: Header=BB1_5 Depth=1
	s_or_b32 exec_lo, exec_lo, s35
	v_add_nc_u32_e32 v56, 8, v56
	v_cmp_le_i32_e32 vcc_lo, s33, v56
	s_or_b32 s70, vcc_lo, s70
	s_andn2_b32 exec_lo, exec_lo, s70
	s_cbranch_execz .LBB1_10
.LBB1_5:                                ; =>This Loop Header: Depth=1
                                        ;     Child Loop BB1_8 Depth 2
	s_mov_b32 s35, exec_lo
	v_cmpx_le_u32_e64 v40, v56
	s_cbranch_execz .LBB1_4
; %bb.6:                                ;   in Loop: Header=BB1_5 Depth=1
	v_mov_b32_e32 v57, v45
	s_load_dwordx2 s[68:69], s[66:67], 0x0
	v_lshlrev_b32_e32 v44, 3, v56
	v_mov_b32_e32 v61, v59
	v_mov_b32_e32 v60, v58
	v_lshlrev_b64 v[0:1], 2, v[56:57]
	v_mov_b32_e32 v74, v40
	s_mov_b32 s49, 0
	v_add_co_u32 v0, vcc_lo, s38, v0
	v_add_co_ci_u32_e64 v1, null, s39, v1, vcc_lo
	global_load_dword v57, v[0:1], off
	v_lshlrev_b64 v[0:1], 3, v[44:45]
	v_mov_b32_e32 v44, v72
	v_add_co_u32 v42, vcc_lo, s36, v0
	v_add_co_ci_u32_e64 v43, null, s37, v1, vcc_lo
	s_branch .LBB1_8
.LBB1_7:                                ;   in Loop: Header=BB1_8 Depth=2
	s_or_b32 exec_lo, exec_lo, s84
	v_add_nc_u32_e32 v74, 8, v74
	v_add_co_u32 v60, s4, v60, 32
	v_add_co_ci_u32_e64 v61, null, 0, v61, s4
	v_cmp_gt_u32_e32 vcc_lo, v74, v56
	v_add_nc_u32_e32 v44, 64, v44
	s_or_b32 s49, vcc_lo, s49
	s_andn2_b32 exec_lo, exec_lo, s49
	s_cbranch_execz .LBB1_3
.LBB1_8:                                ;   Parent Loop BB1_5 Depth=1
                                        ; =>  This Inner Loop Header: Depth=2
	global_load_dword v2, v[60:61], off
	s_mov_b32 s84, exec_lo
	s_waitcnt vmcnt(0)
	v_max_i32_e32 v0, v57, v2
	v_mad_u64_u32 v[0:1], null, v0, v0, v[0:1]
	v_lshrrev_b32_e32 v1, 31, v0
	v_add_nc_u32_e32 v0, v0, v1
	v_min_i32_e32 v1, v57, v2
	v_ashrrev_i32_e32 v0, 1, v0
	v_add_nc_u32_e32 v0, v0, v1
	v_ashrrev_i32_e32 v1, 31, v0
	v_lshlrev_b64 v[0:1], 3, v[0:1]
	v_add_co_u32 v2, vcc_lo, s54, v0
	v_add_co_ci_u32_e64 v3, null, s55, v1, vcc_lo
	v_add_co_u32 v0, vcc_lo, s52, v0
	v_add_co_ci_u32_e64 v1, null, s53, v1, vcc_lo
	global_load_dwordx2 v[2:3], v[2:3], off
	global_load_dwordx2 v[62:63], v[0:1], off
	s_waitcnt vmcnt(1) lgkmcnt(0)
	v_mul_f64 v[0:1], s[68:69], v[2:3]
	s_waitcnt vmcnt(0)
	v_mul_f64 v[0:1], v[0:1], v[62:63]
	v_cmpx_nlt_f64_e64 |v[0:1]|, s[64:65]
	s_cbranch_execz .LBB1_7
; %bb.9:                                ;   in Loop: Header=BB1_8 Depth=2
	v_lshlrev_b64 v[0:1], 3, v[44:45]
	v_mov_b32_e32 v2, s82
	v_mov_b32_e32 v3, s83
	;; [unrolled: 1-line block ×4, first 2 shown]
	s_getpc_b64 s[4:5]
	s_add_u32 s4, s4, _Z12cuda_rys_pbfPKdS0_S0_S0_@rel32@lo+4
	s_addc_u32 s5, s5, _Z12cuda_rys_pbfPKdS0_S0_S0_@rel32@hi+12
	v_add_co_u32 v6, vcc_lo, s36, v0
	v_add_co_ci_u32_e64 v7, null, s37, v1, vcc_lo
	v_mov_b32_e32 v0, s80
	v_mov_b32_e32 v1, s81
	s_swappc_b64 s[30:31], s[4:5]
	v_cvt_f64_f32_e32 v[0:1], v0
	v_cmp_eq_u32_e32 vcc_lo, v56, v74
	v_mov_b32_e32 v2, v45
	v_cndmask_b32_e64 v3, 2.0, 0x3ff00000, vcc_lo
	v_mul_f64 v[0:1], v[62:63], v[0:1]
	v_fma_f64 v[46:47], v[2:3], v[0:1], v[46:47]
	ds_write_b64 v73, v[46:47]
	s_branch .LBB1_7
.LBB1_10:
	s_or_b32 exec_lo, exec_lo, s71
	v_or_b32_e32 v0, v41, v40
	s_waitcnt lgkmcnt(0)
	s_waitcnt_vscnt null, 0x0
	s_barrier
	buffer_gl0_inv
	s_mov_b32 s4, exec_lo
	v_cmpx_eq_u32_e32 0, v0
	s_cbranch_execz .LBB1_12
; %bb.11:
	v_mov_b32_e32 v0, 0
	s_add_i32 s4, s34, 1
	ds_read_b128 v[1:4], v0
	ds_read_b128 v[5:8], v0 offset:16
	s_mul_i32 s4, s4, s34
	s_lshr_b32 s5, s4, 31
	s_add_i32 s4, s4, s5
	s_ashr_i32 s4, s4, 1
	s_add_i32 s4, s4, s48
	s_ashr_i32 s5, s4, 31
	s_lshl_b64 s[4:5], s[4:5], 3
	s_add_u32 s4, s50, s4
	s_addc_u32 s5, s51, s5
	s_waitcnt lgkmcnt(1)
	v_add_f64 v[1:2], v[1:2], 0
	v_add_f64 v[1:2], v[3:4], v[1:2]
	s_waitcnt lgkmcnt(0)
	v_add_f64 v[1:2], v[5:6], v[1:2]
	v_add_f64 v[9:10], v[7:8], v[1:2]
	ds_read_b128 v[1:4], v0 offset:32
	ds_read_b128 v[5:8], v0 offset:48
	s_waitcnt lgkmcnt(1)
	v_add_f64 v[1:2], v[1:2], v[9:10]
	v_add_f64 v[1:2], v[3:4], v[1:2]
	s_waitcnt lgkmcnt(0)
	v_add_f64 v[1:2], v[5:6], v[1:2]
	v_add_f64 v[9:10], v[7:8], v[1:2]
	ds_read_b128 v[1:4], v0 offset:64
	ds_read_b128 v[5:8], v0 offset:80
	;; [unrolled: 8-line block ×15, first 2 shown]
	s_waitcnt lgkmcnt(1)
	v_add_f64 v[1:2], v[1:2], v[9:10]
	v_add_f64 v[1:2], v[3:4], v[1:2]
	s_waitcnt lgkmcnt(0)
	v_add_f64 v[1:2], v[5:6], v[1:2]
	v_add_f64 v[1:2], v[7:8], v[1:2]
	global_store_dwordx2 v0, v[1:2], s[4:5]
.LBB1_12:
	s_endpgm
	.section	.rodata,"a",@progbits
	.p2align	6, 0x0
	.amdhsa_kernel _Z13cuda_mat_J_PIPKdPKiiS0_PdS0_
		.amdhsa_group_segment_fixed_size 512
		.amdhsa_private_segment_fixed_size 272
		.amdhsa_kernarg_size 48
		.amdhsa_user_sgpr_count 6
		.amdhsa_user_sgpr_private_segment_buffer 1
		.amdhsa_user_sgpr_dispatch_ptr 0
		.amdhsa_user_sgpr_queue_ptr 0
		.amdhsa_user_sgpr_kernarg_segment_ptr 1
		.amdhsa_user_sgpr_dispatch_id 0
		.amdhsa_user_sgpr_flat_scratch_init 0
		.amdhsa_user_sgpr_private_segment_size 0
		.amdhsa_wavefront_size32 1
		.amdhsa_uses_dynamic_stack 0
		.amdhsa_system_sgpr_private_segment_wavefront_offset 1
		.amdhsa_system_sgpr_workgroup_id_x 1
		.amdhsa_system_sgpr_workgroup_id_y 1
		.amdhsa_system_sgpr_workgroup_id_z 0
		.amdhsa_system_sgpr_workgroup_info 0
		.amdhsa_system_vgpr_workitem_id 1
		.amdhsa_next_free_vgpr 120
		.amdhsa_next_free_sgpr 89
		.amdhsa_reserve_vcc 1
		.amdhsa_reserve_flat_scratch 1
		.amdhsa_float_round_mode_32 0
		.amdhsa_float_round_mode_16_64 0
		.amdhsa_float_denorm_mode_32 3
		.amdhsa_float_denorm_mode_16_64 3
		.amdhsa_dx10_clamp 1
		.amdhsa_ieee_mode 1
		.amdhsa_fp16_overflow 0
		.amdhsa_workgroup_processor_mode 1
		.amdhsa_memory_ordered 1
		.amdhsa_forward_progress 1
		.amdhsa_shared_vgpr_count 0
		.amdhsa_exception_fp_ieee_invalid_op 0
		.amdhsa_exception_fp_denorm_src 0
		.amdhsa_exception_fp_ieee_div_zero 0
		.amdhsa_exception_fp_ieee_overflow 0
		.amdhsa_exception_fp_ieee_underflow 0
		.amdhsa_exception_fp_ieee_inexact 0
		.amdhsa_exception_int_div_zero 0
	.end_amdhsa_kernel
	.text
.Lfunc_end1:
	.size	_Z13cuda_mat_J_PIPKdPKiiS0_PdS0_, .Lfunc_end1-_Z13cuda_mat_J_PIPKdPKiiS0_PdS0_
                                        ; -- End function
	.set _Z13cuda_mat_J_PIPKdPKiiS0_PdS0_.num_vgpr, max(75, .L_Z12cuda_rys_pbfPKdS0_S0_S0_.num_vgpr)
	.set _Z13cuda_mat_J_PIPKdPKiiS0_PdS0_.num_agpr, max(0, .L_Z12cuda_rys_pbfPKdS0_S0_S0_.num_agpr)
	.set _Z13cuda_mat_J_PIPKdPKiiS0_PdS0_.numbered_sgpr, max(85, .L_Z12cuda_rys_pbfPKdS0_S0_S0_.numbered_sgpr)
	.set _Z13cuda_mat_J_PIPKdPKiiS0_PdS0_.num_named_barrier, max(0, .L_Z12cuda_rys_pbfPKdS0_S0_S0_.num_named_barrier)
	.set _Z13cuda_mat_J_PIPKdPKiiS0_PdS0_.private_seg_size, 0+max(.L_Z12cuda_rys_pbfPKdS0_S0_S0_.private_seg_size)
	.set _Z13cuda_mat_J_PIPKdPKiiS0_PdS0_.uses_vcc, or(1, .L_Z12cuda_rys_pbfPKdS0_S0_S0_.uses_vcc)
	.set _Z13cuda_mat_J_PIPKdPKiiS0_PdS0_.uses_flat_scratch, or(0, .L_Z12cuda_rys_pbfPKdS0_S0_S0_.uses_flat_scratch)
	.set _Z13cuda_mat_J_PIPKdPKiiS0_PdS0_.has_dyn_sized_stack, or(0, .L_Z12cuda_rys_pbfPKdS0_S0_S0_.has_dyn_sized_stack)
	.set _Z13cuda_mat_J_PIPKdPKiiS0_PdS0_.has_recursion, or(0, .L_Z12cuda_rys_pbfPKdS0_S0_S0_.has_recursion)
	.set _Z13cuda_mat_J_PIPKdPKiiS0_PdS0_.has_indirect_call, or(0, .L_Z12cuda_rys_pbfPKdS0_S0_S0_.has_indirect_call)
	.section	.AMDGPU.csdata,"",@progbits
; Kernel info:
; codeLenInByte = 1796
; TotalNumSgprs: 91
; NumVgprs: 120
; ScratchSize: 272
; MemoryBound: 0
; FloatMode: 240
; IeeeMode: 1
; LDSByteSize: 512 bytes/workgroup (compile time only)
; SGPRBlocks: 0
; VGPRBlocks: 14
; NumSGPRsForWavesPerEU: 91
; NumVGPRsForWavesPerEU: 120
; Occupancy: 8
; WaveLimiterHint : 0
; COMPUTE_PGM_RSRC2:SCRATCH_EN: 1
; COMPUTE_PGM_RSRC2:USER_SGPR: 6
; COMPUTE_PGM_RSRC2:TRAP_HANDLER: 0
; COMPUTE_PGM_RSRC2:TGID_X_EN: 1
; COMPUTE_PGM_RSRC2:TGID_Y_EN: 1
; COMPUTE_PGM_RSRC2:TGID_Z_EN: 0
; COMPUTE_PGM_RSRC2:TIDIG_COMP_CNT: 1
	.text
	.protected	_Z13cuda_mat_K_PIPKdPKiiS0_PdS0_ ; -- Begin function _Z13cuda_mat_K_PIPKdPKiiS0_PdS0_
	.globl	_Z13cuda_mat_K_PIPKdPKiiS0_PdS0_
	.p2align	8
	.type	_Z13cuda_mat_K_PIPKdPKiiS0_PdS0_,@function
_Z13cuda_mat_K_PIPKdPKiiS0_PdS0_:       ; @_Z13cuda_mat_K_PIPKdPKiiS0_PdS0_
; %bb.0:
	s_load_dword s66, s[4:5], 0x10
	s_add_u32 s0, s0, s8
	s_addc_u32 s1, s1, 0
	s_mov_b32 s34, s6
	s_mov_b32 s48, s7
	;; [unrolled: 1-line block ×3, first 2 shown]
	s_waitcnt lgkmcnt(0)
	s_cmp_ge_i32 s6, s66
	s_cselect_b32 s6, -1, 0
	s_cmp_gt_i32 s7, s34
	s_cselect_b32 s7, -1, 0
	s_or_b32 s6, s7, s6
	s_and_b32 vcc_lo, exec_lo, s6
	s_cbranch_vccnz .LBB2_12
; %bb.1:
	s_load_dwordx2 s[50:51], s[4:5], 0x20
	v_mov_b32_e32 v40, v1
	v_mov_b32_e32 v41, v0
	;; [unrolled: 1-line block ×3, first 2 shown]
	s_mov_b32 s67, 0
	s_mov_b32 s68, exec_lo
	v_lshlrev_b32_e32 v63, 3, v40
	v_mov_b32_e32 v44, v45
	v_lshl_add_u32 v74, v41, 6, v63
	ds_write_b64 v74, v[44:45]
	v_cmpx_gt_i32_e64 s66, v41
	s_cbranch_execz .LBB2_10
; %bb.2:
	s_clause 0x1
	s_load_dwordx4 s[36:39], s[4:5], 0x0
	s_load_dwordx2 s[52:53], s[4:5], 0x18
	s_lshl_b32 s6, s34, 3
	s_load_dwordx2 s[54:55], s[4:5], 0x28
	s_ashr_i32 s7, s6, 31
	v_lshlrev_b32_e32 v0, 2, v40
	s_lshl_b64 s[6:7], s[6:7], 3
	v_mov_b32_e32 v56, 0
	v_cmp_gt_u32_e64 s33, s66, v40
	v_mov_b32_e32 v57, 0
	v_mov_b32_e32 v58, v41
	s_mov_b32 s64, 0x97d889bc
	s_mov_b32 s65, 0x3c9cd2b2
	s_waitcnt lgkmcnt(0)
	s_add_u32 s69, s36, s6
	s_addc_u32 s70, s37, s7
	s_lshl_b32 s6, s48, 3
	s_ashr_i32 s7, s6, 31
	s_lshl_b64 s[6:7], s[6:7], 3
	s_add_u32 s71, s36, s6
	s_addc_u32 s80, s37, s7
	s_ashr_i32 s35, s34, 31
	s_lshl_b64 s[6:7], s[34:35], 2
	s_add_u32 s6, s38, s6
	s_addc_u32 s7, s39, s7
	;; [unrolled: 4-line block ×3, first 2 shown]
	s_clause 0x1
	s_load_dword s35, s[6:7], 0x0
	s_load_dword s49, s[4:5], 0x0
	v_add_co_u32 v46, s4, s38, v0
	v_add_co_ci_u32_e64 v47, null, s39, 0, s4
	s_branch .LBB2_5
.LBB2_3:                                ;   in Loop: Header=BB2_5 Depth=1
	s_or_b32 exec_lo, exec_lo, s82
.LBB2_4:                                ;   in Loop: Header=BB2_5 Depth=1
	s_or_b32 exec_lo, exec_lo, s81
	v_add_nc_u32_e32 v58, 8, v58
	v_cmp_le_i32_e32 vcc_lo, s66, v58
	s_or_b32 s67, vcc_lo, s67
	s_andn2_b32 exec_lo, exec_lo, s67
	s_cbranch_execz .LBB2_10
.LBB2_5:                                ; =>This Loop Header: Depth=1
                                        ;     Child Loop BB2_8 Depth 2
	s_and_saveexec_b32 s81, s33
	s_cbranch_execz .LBB2_4
; %bb.6:                                ;   in Loop: Header=BB2_5 Depth=1
	v_mov_b32_e32 v59, v45
	v_lshlrev_b32_e32 v44, 3, v58
	v_mov_b32_e32 v62, v47
	v_mov_b32_e32 v61, v46
	v_mov_b32_e32 v76, v40
	v_lshlrev_b64 v[0:1], 2, v[58:59]
	s_mov_b32 s82, 0
	v_add_co_u32 v0, vcc_lo, s38, v0
	v_add_co_ci_u32_e64 v1, null, s39, v1, vcc_lo
	global_load_dword v75, v[0:1], off
	s_waitcnt vmcnt(0) lgkmcnt(0)
	v_max_i32_e32 v0, s35, v75
	v_mad_u64_u32 v[0:1], null, v0, v0, v[0:1]
	v_lshrrev_b32_e32 v1, 31, v0
	v_add_nc_u32_e32 v0, v0, v1
	v_min_i32_e32 v1, s35, v75
	v_ashrrev_i32_e32 v0, 1, v0
	v_add_nc_u32_e32 v0, v0, v1
	v_ashrrev_i32_e32 v1, 31, v0
	v_lshlrev_b64 v[0:1], 3, v[0:1]
	v_add_co_u32 v0, vcc_lo, s54, v0
	v_add_co_ci_u32_e64 v1, null, s55, v1, vcc_lo
	global_load_dwordx2 v[59:60], v[0:1], off
	v_lshlrev_b64 v[0:1], 3, v[44:45]
	v_mov_b32_e32 v44, v63
	v_add_co_u32 v42, vcc_lo, s36, v0
	v_add_co_ci_u32_e64 v43, null, s37, v1, vcc_lo
	s_branch .LBB2_8
.LBB2_7:                                ;   in Loop: Header=BB2_8 Depth=2
	s_or_b32 exec_lo, exec_lo, s83
	v_add_nc_u32_e32 v76, 8, v76
	v_add_co_u32 v61, s4, v61, 32
	v_add_co_ci_u32_e64 v62, null, 0, v62, s4
	v_cmp_le_i32_e32 vcc_lo, s66, v76
	v_add_nc_u32_e32 v44, 64, v44
	s_or_b32 s82, vcc_lo, s82
	s_andn2_b32 exec_lo, exec_lo, s82
	s_cbranch_execz .LBB2_3
.LBB2_8:                                ;   Parent Loop BB2_5 Depth=1
                                        ; =>  This Inner Loop Header: Depth=2
	global_load_dword v3, v[61:62], off
	s_mov_b32 s83, exec_lo
	s_waitcnt vmcnt(0)
	v_max_i32_e32 v0, s49, v3
	v_min_i32_e32 v2, s49, v3
	v_mad_u64_u32 v[0:1], null, v0, v0, v[0:1]
	v_lshrrev_b32_e32 v1, 31, v0
	v_add_nc_u32_e32 v1, v0, v1
	v_max_i32_e32 v0, v75, v3
	v_ashrrev_i32_e32 v4, 1, v1
	v_mad_u64_u32 v[0:1], null, v0, v0, v[0:1]
	v_add_nc_u32_e32 v1, v4, v2
	v_lshrrev_b32_e32 v4, 31, v0
	v_ashrrev_i32_e32 v2, 31, v1
	v_add_nc_u32_e32 v4, v0, v4
	v_lshlrev_b64 v[0:1], 3, v[1:2]
	v_min_i32_e32 v2, v75, v3
	v_ashrrev_i32_e32 v3, 1, v4
	v_add_co_u32 v0, vcc_lo, s54, v0
	v_add_co_ci_u32_e64 v1, null, s55, v1, vcc_lo
	v_add_nc_u32_e32 v2, v3, v2
	global_load_dwordx2 v[0:1], v[0:1], off
	v_ashrrev_i32_e32 v3, 31, v2
	v_lshlrev_b64 v[2:3], 3, v[2:3]
	v_add_co_u32 v2, vcc_lo, s52, v2
	v_add_co_ci_u32_e64 v3, null, s53, v3, vcc_lo
	global_load_dwordx2 v[72:73], v[2:3], off
	s_waitcnt vmcnt(1)
	v_mul_f64 v[0:1], v[59:60], v[0:1]
	s_waitcnt vmcnt(0)
	v_mul_f64 v[0:1], v[0:1], v[72:73]
	v_cmpx_nlt_f64_e64 |v[0:1]|, s[64:65]
	s_cbranch_execz .LBB2_7
; %bb.9:                                ;   in Loop: Header=BB2_8 Depth=2
	v_lshlrev_b64 v[0:1], 3, v[44:45]
	v_mov_b32_e32 v2, v42
	v_mov_b32_e32 v3, v43
	;; [unrolled: 1-line block ×4, first 2 shown]
	s_getpc_b64 s[4:5]
	s_add_u32 s4, s4, _Z12cuda_rys_pbfPKdS0_S0_S0_@rel32@lo+4
	s_addc_u32 s5, s5, _Z12cuda_rys_pbfPKdS0_S0_S0_@rel32@hi+12
	v_add_co_u32 v6, vcc_lo, s36, v0
	v_add_co_ci_u32_e64 v7, null, s37, v1, vcc_lo
	v_mov_b32_e32 v0, s69
	v_mov_b32_e32 v1, s70
	s_swappc_b64 s[30:31], s[4:5]
	v_cvt_f64_f32_e32 v[0:1], v0
	v_fma_f64 v[56:57], v[72:73], v[0:1], v[56:57]
	ds_write_b64 v74, v[56:57]
	s_branch .LBB2_7
.LBB2_10:
	s_or_b32 exec_lo, exec_lo, s68
	v_or_b32_e32 v0, v41, v40
	s_waitcnt lgkmcnt(0)
	s_waitcnt_vscnt null, 0x0
	s_barrier
	buffer_gl0_inv
	s_mov_b32 s4, exec_lo
	v_cmpx_eq_u32_e32 0, v0
	s_cbranch_execz .LBB2_12
; %bb.11:
	v_mov_b32_e32 v0, 0
	s_add_i32 s4, s34, 1
	ds_read_b128 v[1:4], v0
	ds_read_b128 v[5:8], v0 offset:16
	s_mul_i32 s4, s4, s34
	s_lshr_b32 s5, s4, 31
	s_add_i32 s4, s4, s5
	s_ashr_i32 s4, s4, 1
	s_add_i32 s4, s4, s48
	s_ashr_i32 s5, s4, 31
	s_lshl_b64 s[4:5], s[4:5], 3
	s_add_u32 s4, s50, s4
	s_addc_u32 s5, s51, s5
	s_waitcnt lgkmcnt(1)
	v_add_f64 v[1:2], v[1:2], 0
	v_add_f64 v[1:2], v[3:4], v[1:2]
	s_waitcnt lgkmcnt(0)
	v_add_f64 v[1:2], v[5:6], v[1:2]
	v_add_f64 v[9:10], v[7:8], v[1:2]
	ds_read_b128 v[1:4], v0 offset:32
	ds_read_b128 v[5:8], v0 offset:48
	s_waitcnt lgkmcnt(1)
	v_add_f64 v[1:2], v[1:2], v[9:10]
	v_add_f64 v[1:2], v[3:4], v[1:2]
	s_waitcnt lgkmcnt(0)
	v_add_f64 v[1:2], v[5:6], v[1:2]
	v_add_f64 v[9:10], v[7:8], v[1:2]
	ds_read_b128 v[1:4], v0 offset:64
	ds_read_b128 v[5:8], v0 offset:80
	;; [unrolled: 8-line block ×15, first 2 shown]
	s_waitcnt lgkmcnt(1)
	v_add_f64 v[1:2], v[1:2], v[9:10]
	v_add_f64 v[1:2], v[3:4], v[1:2]
	s_waitcnt lgkmcnt(0)
	v_add_f64 v[1:2], v[5:6], v[1:2]
	v_add_f64 v[1:2], v[7:8], v[1:2]
	global_store_dwordx2 v0, v[1:2], s[4:5]
.LBB2_12:
	s_endpgm
	.section	.rodata,"a",@progbits
	.p2align	6, 0x0
	.amdhsa_kernel _Z13cuda_mat_K_PIPKdPKiiS0_PdS0_
		.amdhsa_group_segment_fixed_size 512
		.amdhsa_private_segment_fixed_size 272
		.amdhsa_kernarg_size 48
		.amdhsa_user_sgpr_count 6
		.amdhsa_user_sgpr_private_segment_buffer 1
		.amdhsa_user_sgpr_dispatch_ptr 0
		.amdhsa_user_sgpr_queue_ptr 0
		.amdhsa_user_sgpr_kernarg_segment_ptr 1
		.amdhsa_user_sgpr_dispatch_id 0
		.amdhsa_user_sgpr_flat_scratch_init 0
		.amdhsa_user_sgpr_private_segment_size 0
		.amdhsa_wavefront_size32 1
		.amdhsa_uses_dynamic_stack 0
		.amdhsa_system_sgpr_private_segment_wavefront_offset 1
		.amdhsa_system_sgpr_workgroup_id_x 1
		.amdhsa_system_sgpr_workgroup_id_y 1
		.amdhsa_system_sgpr_workgroup_id_z 0
		.amdhsa_system_sgpr_workgroup_info 0
		.amdhsa_system_vgpr_workitem_id 1
		.amdhsa_next_free_vgpr 120
		.amdhsa_next_free_sgpr 89
		.amdhsa_reserve_vcc 1
		.amdhsa_reserve_flat_scratch 1
		.amdhsa_float_round_mode_32 0
		.amdhsa_float_round_mode_16_64 0
		.amdhsa_float_denorm_mode_32 3
		.amdhsa_float_denorm_mode_16_64 3
		.amdhsa_dx10_clamp 1
		.amdhsa_ieee_mode 1
		.amdhsa_fp16_overflow 0
		.amdhsa_workgroup_processor_mode 1
		.amdhsa_memory_ordered 1
		.amdhsa_forward_progress 1
		.amdhsa_shared_vgpr_count 0
		.amdhsa_exception_fp_ieee_invalid_op 0
		.amdhsa_exception_fp_denorm_src 0
		.amdhsa_exception_fp_ieee_div_zero 0
		.amdhsa_exception_fp_ieee_overflow 0
		.amdhsa_exception_fp_ieee_underflow 0
		.amdhsa_exception_fp_ieee_inexact 0
		.amdhsa_exception_int_div_zero 0
	.end_amdhsa_kernel
	.text
.Lfunc_end2:
	.size	_Z13cuda_mat_K_PIPKdPKiiS0_PdS0_, .Lfunc_end2-_Z13cuda_mat_K_PIPKdPKiiS0_PdS0_
                                        ; -- End function
	.set _Z13cuda_mat_K_PIPKdPKiiS0_PdS0_.num_vgpr, max(77, .L_Z12cuda_rys_pbfPKdS0_S0_S0_.num_vgpr)
	.set _Z13cuda_mat_K_PIPKdPKiiS0_PdS0_.num_agpr, max(0, .L_Z12cuda_rys_pbfPKdS0_S0_S0_.num_agpr)
	.set _Z13cuda_mat_K_PIPKdPKiiS0_PdS0_.numbered_sgpr, max(84, .L_Z12cuda_rys_pbfPKdS0_S0_S0_.numbered_sgpr)
	.set _Z13cuda_mat_K_PIPKdPKiiS0_PdS0_.num_named_barrier, max(0, .L_Z12cuda_rys_pbfPKdS0_S0_S0_.num_named_barrier)
	.set _Z13cuda_mat_K_PIPKdPKiiS0_PdS0_.private_seg_size, 0+max(.L_Z12cuda_rys_pbfPKdS0_S0_S0_.private_seg_size)
	.set _Z13cuda_mat_K_PIPKdPKiiS0_PdS0_.uses_vcc, or(1, .L_Z12cuda_rys_pbfPKdS0_S0_S0_.uses_vcc)
	.set _Z13cuda_mat_K_PIPKdPKiiS0_PdS0_.uses_flat_scratch, or(0, .L_Z12cuda_rys_pbfPKdS0_S0_S0_.uses_flat_scratch)
	.set _Z13cuda_mat_K_PIPKdPKiiS0_PdS0_.has_dyn_sized_stack, or(0, .L_Z12cuda_rys_pbfPKdS0_S0_S0_.has_dyn_sized_stack)
	.set _Z13cuda_mat_K_PIPKdPKiiS0_PdS0_.has_recursion, or(0, .L_Z12cuda_rys_pbfPKdS0_S0_S0_.has_recursion)
	.set _Z13cuda_mat_K_PIPKdPKiiS0_PdS0_.has_indirect_call, or(0, .L_Z12cuda_rys_pbfPKdS0_S0_S0_.has_indirect_call)
	.section	.AMDGPU.csdata,"",@progbits
; Kernel info:
; codeLenInByte = 1824
; TotalNumSgprs: 91
; NumVgprs: 120
; ScratchSize: 272
; MemoryBound: 0
; FloatMode: 240
; IeeeMode: 1
; LDSByteSize: 512 bytes/workgroup (compile time only)
; SGPRBlocks: 0
; VGPRBlocks: 14
; NumSGPRsForWavesPerEU: 91
; NumVGPRsForWavesPerEU: 120
; Occupancy: 8
; WaveLimiterHint : 0
; COMPUTE_PGM_RSRC2:SCRATCH_EN: 1
; COMPUTE_PGM_RSRC2:USER_SGPR: 6
; COMPUTE_PGM_RSRC2:TRAP_HANDLER: 0
; COMPUTE_PGM_RSRC2:TGID_X_EN: 1
; COMPUTE_PGM_RSRC2:TGID_Y_EN: 1
; COMPUTE_PGM_RSRC2:TGID_Z_EN: 0
; COMPUTE_PGM_RSRC2:TIDIG_COMP_CNT: 1
	.text
	.p2alignl 6, 3214868480
	.fill 48, 4, 3214868480
	.section	.AMDGPU.gpr_maximums,"",@progbits
	.set amdgpu.max_num_vgpr, 120
	.set amdgpu.max_num_agpr, 0
	.set amdgpu.max_num_sgpr, 89
	.text
	.type	__hip_cuid_8418b7c279f27a50,@object ; @__hip_cuid_8418b7c279f27a50
	.section	.bss,"aw",@nobits
	.globl	__hip_cuid_8418b7c279f27a50
__hip_cuid_8418b7c279f27a50:
	.byte	0                               ; 0x0
	.size	__hip_cuid_8418b7c279f27a50, 1

	.ident	"AMD clang version 22.0.0git (https://github.com/RadeonOpenCompute/llvm-project roc-7.2.4 26084 f58b06dce1f9c15707c5f808fd002e18c2accf7e)"
	.section	".note.GNU-stack","",@progbits
	.addrsig
	.addrsig_sym __hip_cuid_8418b7c279f27a50
	.amdgpu_metadata
---
amdhsa.kernels:
  - .args:
      - .actual_access:  read_only
        .address_space:  global
        .offset:         0
        .size:           8
        .value_kind:     global_buffer
      - .actual_access:  read_only
        .address_space:  global
        .offset:         8
        .size:           8
        .value_kind:     global_buffer
      - .offset:         16
        .size:           4
        .value_kind:     by_value
      - .actual_access:  read_only
        .address_space:  global
        .offset:         24
        .size:           8
        .value_kind:     global_buffer
      - .actual_access:  write_only
        .address_space:  global
        .offset:         32
        .size:           8
        .value_kind:     global_buffer
      - .actual_access:  read_only
        .address_space:  global
        .offset:         40
        .size:           8
        .value_kind:     global_buffer
    .group_segment_fixed_size: 512
    .kernarg_segment_align: 8
    .kernarg_segment_size: 48
    .language:       OpenCL C
    .language_version:
      - 2
      - 0
    .max_flat_workgroup_size: 1024
    .name:           _Z13cuda_mat_J_PIPKdPKiiS0_PdS0_
    .private_segment_fixed_size: 272
    .sgpr_count:     91
    .sgpr_spill_count: 0
    .symbol:         _Z13cuda_mat_J_PIPKdPKiiS0_PdS0_.kd
    .uniform_work_group_size: 1
    .uses_dynamic_stack: false
    .vgpr_count:     120
    .vgpr_spill_count: 0
    .wavefront_size: 32
    .workgroup_processor_mode: 1
  - .args:
      - .actual_access:  read_only
        .address_space:  global
        .offset:         0
        .size:           8
        .value_kind:     global_buffer
      - .actual_access:  read_only
        .address_space:  global
        .offset:         8
        .size:           8
        .value_kind:     global_buffer
      - .offset:         16
        .size:           4
        .value_kind:     by_value
      - .actual_access:  read_only
        .address_space:  global
        .offset:         24
        .size:           8
        .value_kind:     global_buffer
      - .actual_access:  write_only
        .address_space:  global
        .offset:         32
        .size:           8
        .value_kind:     global_buffer
      - .actual_access:  read_only
        .address_space:  global
        .offset:         40
        .size:           8
        .value_kind:     global_buffer
    .group_segment_fixed_size: 512
    .kernarg_segment_align: 8
    .kernarg_segment_size: 48
    .language:       OpenCL C
    .language_version:
      - 2
      - 0
    .max_flat_workgroup_size: 1024
    .name:           _Z13cuda_mat_K_PIPKdPKiiS0_PdS0_
    .private_segment_fixed_size: 272
    .sgpr_count:     91
    .sgpr_spill_count: 0
    .symbol:         _Z13cuda_mat_K_PIPKdPKiiS0_PdS0_.kd
    .uniform_work_group_size: 1
    .uses_dynamic_stack: false
    .vgpr_count:     120
    .vgpr_spill_count: 0
    .wavefront_size: 32
    .workgroup_processor_mode: 1
amdhsa.target:   amdgcn-amd-amdhsa--gfx1030
amdhsa.version:
  - 1
  - 2
...

	.end_amdgpu_metadata
